;; amdgpu-corpus repo=ROCm/rocFFT kind=compiled arch=gfx906 opt=O3
	.text
	.amdgcn_target "amdgcn-amd-amdhsa--gfx906"
	.amdhsa_code_object_version 6
	.protected	fft_rtc_back_len2160_factors_10_6_6_6_wgs_60_tpt_60_halfLds_sp_op_CI_CI_unitstride_sbrr_dirReg ; -- Begin function fft_rtc_back_len2160_factors_10_6_6_6_wgs_60_tpt_60_halfLds_sp_op_CI_CI_unitstride_sbrr_dirReg
	.globl	fft_rtc_back_len2160_factors_10_6_6_6_wgs_60_tpt_60_halfLds_sp_op_CI_CI_unitstride_sbrr_dirReg
	.p2align	8
	.type	fft_rtc_back_len2160_factors_10_6_6_6_wgs_60_tpt_60_halfLds_sp_op_CI_CI_unitstride_sbrr_dirReg,@function
fft_rtc_back_len2160_factors_10_6_6_6_wgs_60_tpt_60_halfLds_sp_op_CI_CI_unitstride_sbrr_dirReg: ; @fft_rtc_back_len2160_factors_10_6_6_6_wgs_60_tpt_60_halfLds_sp_op_CI_CI_unitstride_sbrr_dirReg
; %bb.0:
	s_load_dwordx4 s[8:11], s[4:5], 0x58
	s_load_dwordx4 s[12:15], s[4:5], 0x0
	;; [unrolled: 1-line block ×3, first 2 shown]
	v_mul_u32_u24_e32 v1, 0x445, v0
	v_add_u32_sdwa v3, s6, v1 dst_sel:DWORD dst_unused:UNUSED_PAD src0_sel:DWORD src1_sel:WORD_1
	v_mov_b32_e32 v1, 0
	s_waitcnt lgkmcnt(0)
	v_cmp_lt_u64_e64 s[0:1], s[14:15], 2
	v_mov_b32_e32 v84, 0
	v_mov_b32_e32 v4, v1
	s_and_b64 vcc, exec, s[0:1]
	v_mov_b32_e32 v85, 0
	s_cbranch_vccnz .LBB0_8
; %bb.1:
	s_load_dwordx2 s[0:1], s[4:5], 0x10
	s_add_u32 s2, s18, 8
	s_addc_u32 s3, s19, 0
	s_add_u32 s6, s16, 8
	s_addc_u32 s7, s17, 0
	v_mov_b32_e32 v84, 0
	s_waitcnt lgkmcnt(0)
	s_add_u32 s20, s0, 8
	v_mov_b32_e32 v85, 0
	v_mov_b32_e32 v8, v84
	s_addc_u32 s21, s1, 0
	s_mov_b64 s[22:23], 1
	v_mov_b32_e32 v9, v85
.LBB0_2:                                ; =>This Inner Loop Header: Depth=1
	s_load_dwordx2 s[24:25], s[20:21], 0x0
                                        ; implicit-def: $vgpr10_vgpr11
	s_waitcnt lgkmcnt(0)
	v_or_b32_e32 v2, s25, v4
	v_cmp_ne_u64_e32 vcc, 0, v[1:2]
	s_and_saveexec_b64 s[0:1], vcc
	s_xor_b64 s[26:27], exec, s[0:1]
	s_cbranch_execz .LBB0_4
; %bb.3:                                ;   in Loop: Header=BB0_2 Depth=1
	v_cvt_f32_u32_e32 v2, s24
	v_cvt_f32_u32_e32 v5, s25
	s_sub_u32 s0, 0, s24
	s_subb_u32 s1, 0, s25
	v_mac_f32_e32 v2, 0x4f800000, v5
	v_rcp_f32_e32 v2, v2
	v_mul_f32_e32 v2, 0x5f7ffffc, v2
	v_mul_f32_e32 v5, 0x2f800000, v2
	v_trunc_f32_e32 v5, v5
	v_mac_f32_e32 v2, 0xcf800000, v5
	v_cvt_u32_f32_e32 v5, v5
	v_cvt_u32_f32_e32 v2, v2
	v_mul_lo_u32 v6, s0, v5
	v_mul_hi_u32 v7, s0, v2
	v_mul_lo_u32 v11, s1, v2
	v_mul_lo_u32 v10, s0, v2
	v_add_u32_e32 v6, v7, v6
	v_add_u32_e32 v6, v6, v11
	v_mul_hi_u32 v7, v2, v10
	v_mul_lo_u32 v11, v2, v6
	v_mul_hi_u32 v13, v2, v6
	v_mul_hi_u32 v12, v5, v10
	v_mul_lo_u32 v10, v5, v10
	v_mul_hi_u32 v14, v5, v6
	v_add_co_u32_e32 v7, vcc, v7, v11
	v_addc_co_u32_e32 v11, vcc, 0, v13, vcc
	v_mul_lo_u32 v6, v5, v6
	v_add_co_u32_e32 v7, vcc, v7, v10
	v_addc_co_u32_e32 v7, vcc, v11, v12, vcc
	v_addc_co_u32_e32 v10, vcc, 0, v14, vcc
	v_add_co_u32_e32 v6, vcc, v7, v6
	v_addc_co_u32_e32 v7, vcc, 0, v10, vcc
	v_add_co_u32_e32 v2, vcc, v2, v6
	v_addc_co_u32_e32 v5, vcc, v5, v7, vcc
	v_mul_lo_u32 v6, s0, v5
	v_mul_hi_u32 v7, s0, v2
	v_mul_lo_u32 v10, s1, v2
	v_mul_lo_u32 v11, s0, v2
	v_add_u32_e32 v6, v7, v6
	v_add_u32_e32 v6, v6, v10
	v_mul_lo_u32 v12, v2, v6
	v_mul_hi_u32 v13, v2, v11
	v_mul_hi_u32 v14, v2, v6
	v_mul_hi_u32 v10, v5, v11
	v_mul_lo_u32 v11, v5, v11
	v_mul_hi_u32 v7, v5, v6
	v_add_co_u32_e32 v12, vcc, v13, v12
	v_addc_co_u32_e32 v13, vcc, 0, v14, vcc
	v_mul_lo_u32 v6, v5, v6
	v_add_co_u32_e32 v11, vcc, v12, v11
	v_addc_co_u32_e32 v10, vcc, v13, v10, vcc
	v_addc_co_u32_e32 v7, vcc, 0, v7, vcc
	v_add_co_u32_e32 v6, vcc, v10, v6
	v_addc_co_u32_e32 v7, vcc, 0, v7, vcc
	v_add_co_u32_e32 v2, vcc, v2, v6
	v_addc_co_u32_e32 v7, vcc, v5, v7, vcc
	v_mad_u64_u32 v[5:6], s[0:1], v3, v7, 0
	v_mul_hi_u32 v10, v3, v2
	v_add_co_u32_e32 v12, vcc, v10, v5
	v_addc_co_u32_e32 v13, vcc, 0, v6, vcc
	v_mad_u64_u32 v[5:6], s[0:1], v4, v2, 0
	v_mad_u64_u32 v[10:11], s[0:1], v4, v7, 0
	v_add_co_u32_e32 v2, vcc, v12, v5
	v_addc_co_u32_e32 v2, vcc, v13, v6, vcc
	v_addc_co_u32_e32 v5, vcc, 0, v11, vcc
	v_add_co_u32_e32 v2, vcc, v2, v10
	v_addc_co_u32_e32 v7, vcc, 0, v5, vcc
	v_mul_lo_u32 v10, s25, v2
	v_mul_lo_u32 v11, s24, v7
	v_mad_u64_u32 v[5:6], s[0:1], s24, v2, 0
	v_add3_u32 v6, v6, v11, v10
	v_sub_u32_e32 v10, v4, v6
	v_mov_b32_e32 v11, s25
	v_sub_co_u32_e32 v5, vcc, v3, v5
	v_subb_co_u32_e64 v10, s[0:1], v10, v11, vcc
	v_subrev_co_u32_e64 v11, s[0:1], s24, v5
	v_subbrev_co_u32_e64 v10, s[0:1], 0, v10, s[0:1]
	v_cmp_le_u32_e64 s[0:1], s25, v10
	v_cndmask_b32_e64 v12, 0, -1, s[0:1]
	v_cmp_le_u32_e64 s[0:1], s24, v11
	v_cndmask_b32_e64 v11, 0, -1, s[0:1]
	v_cmp_eq_u32_e64 s[0:1], s25, v10
	v_cndmask_b32_e64 v10, v12, v11, s[0:1]
	v_add_co_u32_e64 v12, s[0:1], 2, v2
	v_addc_co_u32_e64 v11, s[0:1], 0, v7, s[0:1]
	v_add_co_u32_e64 v13, s[0:1], 1, v2
	v_addc_co_u32_e64 v14, s[0:1], 0, v7, s[0:1]
	v_subb_co_u32_e32 v6, vcc, v4, v6, vcc
	v_cmp_ne_u32_e64 s[0:1], 0, v10
	v_cmp_le_u32_e32 vcc, s25, v6
	v_cndmask_b32_e64 v10, v14, v11, s[0:1]
	v_cndmask_b32_e64 v11, 0, -1, vcc
	v_cmp_le_u32_e32 vcc, s24, v5
	v_cndmask_b32_e64 v5, 0, -1, vcc
	v_cmp_eq_u32_e32 vcc, s25, v6
	v_cndmask_b32_e32 v5, v11, v5, vcc
	v_cmp_ne_u32_e32 vcc, 0, v5
	v_cndmask_b32_e64 v5, v13, v12, s[0:1]
	v_cndmask_b32_e32 v11, v7, v10, vcc
	v_cndmask_b32_e32 v10, v2, v5, vcc
.LBB0_4:                                ;   in Loop: Header=BB0_2 Depth=1
	s_andn2_saveexec_b64 s[0:1], s[26:27]
	s_cbranch_execz .LBB0_6
; %bb.5:                                ;   in Loop: Header=BB0_2 Depth=1
	v_cvt_f32_u32_e32 v2, s24
	s_sub_i32 s26, 0, s24
	v_mov_b32_e32 v11, v1
	v_rcp_iflag_f32_e32 v2, v2
	v_mul_f32_e32 v2, 0x4f7ffffe, v2
	v_cvt_u32_f32_e32 v2, v2
	v_mul_lo_u32 v5, s26, v2
	v_mul_hi_u32 v5, v2, v5
	v_add_u32_e32 v2, v2, v5
	v_mul_hi_u32 v2, v3, v2
	v_mul_lo_u32 v5, v2, s24
	v_add_u32_e32 v6, 1, v2
	v_sub_u32_e32 v5, v3, v5
	v_subrev_u32_e32 v7, s24, v5
	v_cmp_le_u32_e32 vcc, s24, v5
	v_cndmask_b32_e32 v5, v5, v7, vcc
	v_cndmask_b32_e32 v2, v2, v6, vcc
	v_add_u32_e32 v6, 1, v2
	v_cmp_le_u32_e32 vcc, s24, v5
	v_cndmask_b32_e32 v10, v2, v6, vcc
.LBB0_6:                                ;   in Loop: Header=BB0_2 Depth=1
	s_or_b64 exec, exec, s[0:1]
	v_mul_lo_u32 v2, v11, s24
	v_mul_lo_u32 v7, v10, s25
	v_mad_u64_u32 v[5:6], s[0:1], v10, s24, 0
	s_load_dwordx2 s[0:1], s[6:7], 0x0
	s_load_dwordx2 s[24:25], s[2:3], 0x0
	v_add3_u32 v2, v6, v7, v2
	v_sub_co_u32_e32 v3, vcc, v3, v5
	v_subb_co_u32_e32 v2, vcc, v4, v2, vcc
	s_waitcnt lgkmcnt(0)
	v_mul_lo_u32 v4, s0, v2
	v_mul_lo_u32 v5, s1, v3
	v_mad_u64_u32 v[84:85], s[0:1], s0, v3, v[84:85]
	v_mul_lo_u32 v2, s24, v2
	v_mul_lo_u32 v6, s25, v3
	v_mad_u64_u32 v[8:9], s[0:1], s24, v3, v[8:9]
	s_add_u32 s22, s22, 1
	s_addc_u32 s23, s23, 0
	s_add_u32 s2, s2, 8
	v_add3_u32 v9, v6, v9, v2
	s_addc_u32 s3, s3, 0
	v_mov_b32_e32 v2, s14
	s_add_u32 s6, s6, 8
	v_mov_b32_e32 v3, s15
	s_addc_u32 s7, s7, 0
	v_cmp_ge_u64_e32 vcc, s[22:23], v[2:3]
	s_add_u32 s20, s20, 8
	v_add3_u32 v85, v5, v85, v4
	s_addc_u32 s21, s21, 0
	s_cbranch_vccnz .LBB0_9
; %bb.7:                                ;   in Loop: Header=BB0_2 Depth=1
	v_mov_b32_e32 v3, v10
	v_mov_b32_e32 v4, v11
	s_branch .LBB0_2
.LBB0_8:
	v_mov_b32_e32 v8, v84
	v_mov_b32_e32 v11, v4
	;; [unrolled: 1-line block ×4, first 2 shown]
.LBB0_9:
	s_load_dwordx2 s[4:5], s[4:5], 0x28
	s_lshl_b64 s[6:7], s[14:15], 3
	s_add_u32 s2, s18, s6
	s_addc_u32 s3, s19, s7
                                        ; implicit-def: $vgpr86
	s_waitcnt lgkmcnt(0)
	v_cmp_gt_u64_e64 s[0:1], s[4:5], v[10:11]
	v_cmp_le_u64_e32 vcc, s[4:5], v[10:11]
	s_and_saveexec_b64 s[4:5], vcc
	s_xor_b64 s[4:5], exec, s[4:5]
; %bb.10:
	s_mov_b32 s14, 0x4444445
	v_mul_hi_u32 v1, v0, s14
                                        ; implicit-def: $vgpr84_vgpr85
	v_mul_u32_u24_e32 v1, 60, v1
	v_sub_u32_e32 v86, v0, v1
                                        ; implicit-def: $vgpr0
; %bb.11:
	s_or_saveexec_b64 s[4:5], s[4:5]
	s_load_dwordx2 s[2:3], s[2:3], 0x0
                                        ; implicit-def: $vgpr21
                                        ; implicit-def: $vgpr23
                                        ; implicit-def: $vgpr15
                                        ; implicit-def: $vgpr19
                                        ; implicit-def: $vgpr13
                                        ; implicit-def: $vgpr17
                                        ; implicit-def: $vgpr5
                                        ; implicit-def: $vgpr7
                                        ; implicit-def: $vgpr3
                                        ; implicit-def: $vgpr1
                                        ; implicit-def: $vgpr37
                                        ; implicit-def: $vgpr39
                                        ; implicit-def: $vgpr29
                                        ; implicit-def: $vgpr33
                                        ; implicit-def: $vgpr27
                                        ; implicit-def: $vgpr31
                                        ; implicit-def: $vgpr41
                                        ; implicit-def: $vgpr25
                                        ; implicit-def: $vgpr43
                                        ; implicit-def: $vgpr35
                                        ; implicit-def: $vgpr53
                                        ; implicit-def: $vgpr47
                                        ; implicit-def: $vgpr55
                                        ; implicit-def: $vgpr59
                                        ; implicit-def: $vgpr51
                                        ; implicit-def: $vgpr49
                                        ; implicit-def: $vgpr45
                                        ; implicit-def: $vgpr63
                                        ; implicit-def: $vgpr61
                                        ; implicit-def: $vgpr57
                                        ; implicit-def: $vgpr73
                                        ; implicit-def: $vgpr79
                                        ; implicit-def: $vgpr71
                                        ; implicit-def: $vgpr77
                                        ; implicit-def: $vgpr67
                                        ; implicit-def: $vgpr69
                                        ; implicit-def: $vgpr65
                                        ; implicit-def: $vgpr83
                                        ; implicit-def: $vgpr81
                                        ; implicit-def: $vgpr75
	s_xor_b64 exec, exec, s[4:5]
	s_cbranch_execz .LBB0_15
; %bb.12:
	s_add_u32 s6, s16, s6
	s_addc_u32 s7, s17, s7
	s_load_dwordx2 s[6:7], s[6:7], 0x0
	s_mov_b32 s14, 0x4444445
	v_mul_hi_u32 v3, v0, s14
                                        ; implicit-def: $vgpr16
                                        ; implicit-def: $vgpr18
                                        ; implicit-def: $vgpr22
                                        ; implicit-def: $vgpr20
	s_waitcnt lgkmcnt(0)
	v_mul_lo_u32 v4, s7, v10
	v_mul_lo_u32 v5, s6, v11
	v_mad_u64_u32 v[1:2], s[6:7], s6, v10, 0
	v_mul_u32_u24_e32 v3, 60, v3
	v_sub_u32_e32 v86, v0, v3
	v_add3_u32 v2, v2, v5, v4
	v_lshlrev_b64 v[0:1], 3, v[1:2]
	v_mov_b32_e32 v2, s9
	v_add_co_u32_e32 v3, vcc, s8, v0
	v_addc_co_u32_e32 v2, vcc, v2, v1, vcc
	v_lshlrev_b64 v[0:1], 3, v[84:85]
	v_lshlrev_b32_e32 v14, 3, v86
	v_add_co_u32_e32 v12, vcc, v3, v0
	v_addc_co_u32_e32 v13, vcc, v2, v1, vcc
	v_add_co_u32_e32 v84, vcc, v12, v14
	v_addc_co_u32_e32 v85, vcc, 0, v13, vcc
	s_movk_i32 s6, 0x1000
	v_add_co_u32_e32 v0, vcc, s6, v84
	v_addc_co_u32_e32 v1, vcc, 0, v85, vcc
	s_movk_i32 s6, 0x2000
	v_add_co_u32_e32 v2, vcc, s6, v84
	v_addc_co_u32_e32 v3, vcc, 0, v85, vcc
	v_or_b32_e32 v4, 0x3600, v14
	v_add_co_u32_e32 v4, vcc, v12, v4
	v_addc_co_u32_e32 v5, vcc, 0, v13, vcc
	s_movk_i32 s6, 0x3000
	v_add_co_u32_e32 v6, vcc, s6, v84
	v_addc_co_u32_e32 v7, vcc, 0, v85, vcc
	global_load_dwordx2 v[48:49], v[0:1], off offset:3296
	global_load_dwordx2 v[46:47], v[6:7], off offset:2016
	;; [unrolled: 1-line block ×6, first 2 shown]
	v_or_b32_e32 v14, 0x1800, v14
	global_load_dwordx2 v[50:51], v[2:3], off offset:928
	global_load_dwordx2 v[66:67], v[2:3], off offset:448
	;; [unrolled: 1-line block ×8, first 2 shown]
	global_load_dwordx2 v[78:79], v[4:5], off
	global_load_dwordx2 v[54:55], v[6:7], off offset:288
	global_load_dwordx2 v[28:29], v[6:7], off offset:768
	global_load_dwordx2 v[52:53], v[6:7], off offset:3744
	global_load_dwordx2 v[72:73], v[6:7], off offset:3264
	global_load_dwordx2 v[38:39], v[6:7], off offset:2496
	v_add_co_u32_e32 v12, vcc, v12, v14
	v_addc_co_u32_e32 v13, vcc, 0, v13, vcc
	v_add_co_u32_e32 v0, vcc, 0x4000, v84
	v_addc_co_u32_e32 v1, vcc, 0, v85, vcc
	global_load_dwordx2 v[40:41], v[12:13], off
	global_load_dwordx2 v[36:37], v[0:1], off offset:128
	global_load_dwordx2 v[74:75], v[84:85], off
	global_load_dwordx2 v[56:57], v[84:85], off offset:480
	global_load_dwordx2 v[60:61], v[84:85], off offset:2208
	;; [unrolled: 1-line block ×7, first 2 shown]
	v_cmp_gt_u32_e32 vcc, 36, v86
                                        ; implicit-def: $vgpr0
                                        ; implicit-def: $vgpr2
                                        ; implicit-def: $vgpr6
                                        ; implicit-def: $vgpr4
                                        ; implicit-def: $vgpr12
                                        ; implicit-def: $vgpr14
	s_and_saveexec_b64 s[6:7], vcc
	s_cbranch_execz .LBB0_14
; %bb.13:
	v_add_co_u32_e32 v12, vcc, 0x1000, v84
	v_addc_co_u32_e32 v13, vcc, 0, v85, vcc
	v_add_co_u32_e32 v20, vcc, 0x2000, v84
	v_addc_co_u32_e32 v21, vcc, 0, v85, vcc
	v_add_co_u32_e32 v87, vcc, 0x3000, v84
	global_load_dwordx2 v[0:1], v[84:85], off offset:1440
	global_load_dwordx2 v[2:3], v[84:85], off offset:3168
	;; [unrolled: 1-line block ×4, first 2 shown]
	v_addc_co_u32_e32 v88, vcc, 0, v85, vcc
	global_load_dwordx2 v[16:17], v[20:21], off offset:160
	global_load_dwordx2 v[12:13], v[20:21], off offset:1888
	;; [unrolled: 1-line block ×4, first 2 shown]
	v_add_co_u32_e32 v84, vcc, 0x4000, v84
	v_addc_co_u32_e32 v85, vcc, 0, v85, vcc
	global_load_dwordx2 v[22:23], v[87:88], off offset:2976
	global_load_dwordx2 v[20:21], v[84:85], off offset:608
.LBB0_14:
	s_or_b64 exec, exec, s[6:7]
.LBB0_15:
	s_or_b64 exec, exec, s[4:5]
	s_waitcnt vmcnt(1)
	v_add_f32_e32 v84, v82, v74
	v_add_f32_e32 v84, v68, v84
	;; [unrolled: 1-line block ×5, first 2 shown]
	v_fma_f32 v90, -0.5, v84, v74
	v_sub_f32_e32 v84, v83, v79
	v_mov_b32_e32 v91, v90
	v_fmac_f32_e32 v91, 0xbf737871, v84
	v_sub_f32_e32 v85, v69, v77
	v_sub_f32_e32 v87, v82, v68
	;; [unrolled: 1-line block ×3, first 2 shown]
	v_fmac_f32_e32 v90, 0x3f737871, v84
	v_fmac_f32_e32 v91, 0xbf167918, v85
	v_add_f32_e32 v87, v88, v87
	v_fmac_f32_e32 v90, 0x3f167918, v85
	v_fmac_f32_e32 v91, 0x3e9e377a, v87
	;; [unrolled: 1-line block ×3, first 2 shown]
	v_add_f32_e32 v87, v78, v82
	v_fmac_f32_e32 v74, -0.5, v87
	v_mov_b32_e32 v92, v74
	v_fmac_f32_e32 v92, 0x3f737871, v85
	v_fmac_f32_e32 v74, 0xbf737871, v85
	;; [unrolled: 1-line block ×4, first 2 shown]
	v_add_f32_e32 v84, v64, v80
	v_add_f32_e32 v84, v66, v84
	;; [unrolled: 1-line block ×5, first 2 shown]
	v_sub_f32_e32 v87, v68, v82
	v_sub_f32_e32 v88, v76, v78
	v_fma_f32 v84, -0.5, v84, v80
	v_add_f32_e32 v87, v88, v87
	v_sub_f32_e32 v88, v65, v73
	v_mov_b32_e32 v85, v84
	v_fmac_f32_e32 v92, 0x3e9e377a, v87
	v_fmac_f32_e32 v74, 0x3e9e377a, v87
	;; [unrolled: 1-line block ×3, first 2 shown]
	v_sub_f32_e32 v94, v67, v71
	v_sub_f32_e32 v87, v64, v66
	;; [unrolled: 1-line block ×3, first 2 shown]
	v_fmac_f32_e32 v84, 0x3f737871, v88
	v_fmac_f32_e32 v85, 0xbf167918, v94
	v_add_f32_e32 v87, v95, v87
	v_fmac_f32_e32 v84, 0x3f167918, v94
	v_fmac_f32_e32 v85, 0x3e9e377a, v87
	;; [unrolled: 1-line block ×3, first 2 shown]
	v_add_f32_e32 v87, v72, v64
	v_fmac_f32_e32 v80, -0.5, v87
	v_mov_b32_e32 v87, v80
	v_fmac_f32_e32 v87, 0x3f737871, v94
	v_fmac_f32_e32 v80, 0xbf737871, v94
	;; [unrolled: 1-line block ×4, first 2 shown]
	v_add_f32_e32 v88, v71, v67
	v_fma_f32 v88, -0.5, v88, v81
	v_sub_f32_e32 v95, v66, v64
	v_sub_f32_e32 v96, v70, v72
	;; [unrolled: 1-line block ×3, first 2 shown]
	v_mov_b32_e32 v64, v88
	v_fmac_f32_e32 v64, 0x3f737871, v72
	v_sub_f32_e32 v94, v66, v70
	v_sub_f32_e32 v66, v65, v67
	;; [unrolled: 1-line block ×3, first 2 shown]
	v_fmac_f32_e32 v88, 0xbf737871, v72
	v_fmac_f32_e32 v64, 0x3f167918, v94
	v_add_f32_e32 v66, v70, v66
	v_fmac_f32_e32 v88, 0xbf167918, v94
	v_fmac_f32_e32 v64, 0x3e9e377a, v66
	;; [unrolled: 1-line block ×3, first 2 shown]
	v_add_f32_e32 v66, v73, v65
	v_fma_f32 v66, -0.5, v66, v81
	v_mov_b32_e32 v70, v66
	v_add_f32_e32 v95, v96, v95
	v_fmac_f32_e32 v70, 0xbf737871, v94
	v_fmac_f32_e32 v66, 0x3f737871, v94
	;; [unrolled: 1-line block ×5, first 2 shown]
	v_sub_f32_e32 v95, v67, v65
	v_sub_f32_e32 v96, v71, v73
	v_fmac_f32_e32 v66, 0xbf167918, v72
	v_mul_f32_e32 v72, 0xbf167918, v64
	v_add_f32_e32 v95, v96, v95
	v_fmac_f32_e32 v72, 0x3f4f1bbd, v85
	v_fmac_f32_e32 v70, 0x3e9e377a, v95
	;; [unrolled: 1-line block ×3, first 2 shown]
	v_add_f32_e32 v95, v91, v72
	v_sub_f32_e32 v102, v91, v72
	v_add_f32_e32 v72, v62, v56
	v_add_f32_e32 v72, v48, v72
	v_mul_f32_e32 v100, 0xbf737871, v70
	v_add_f32_e32 v72, v58, v72
	v_add_f32_e32 v94, v93, v89
	v_fmac_f32_e32 v100, 0x3e9e377a, v87
	v_sub_f32_e32 v99, v89, v93
	v_add_f32_e32 v89, v46, v72
	v_add_f32_e32 v72, v58, v48
	;; [unrolled: 1-line block ×3, first 2 shown]
	v_mul_f32_e32 v101, 0xbf737871, v66
	v_mul_f32_e32 v105, 0xbf167918, v88
	v_sub_f32_e32 v103, v92, v100
	v_fma_f32 v92, -0.5, v72, v56
	v_fmac_f32_e32 v101, 0xbe9e377a, v80
	v_fmac_f32_e32 v105, 0xbf4f1bbd, v84
	v_sub_f32_e32 v72, v63, v47
	v_mov_b32_e32 v93, v92
	v_add_f32_e32 v97, v74, v101
	v_add_f32_e32 v98, v90, v105
	v_sub_f32_e32 v104, v74, v101
	v_sub_f32_e32 v105, v90, v105
	v_fmac_f32_e32 v93, 0xbf737871, v72
	v_sub_f32_e32 v74, v49, v59
	v_sub_f32_e32 v90, v62, v48
	;; [unrolled: 1-line block ×3, first 2 shown]
	v_fmac_f32_e32 v92, 0x3f737871, v72
	v_fmac_f32_e32 v93, 0xbf167918, v74
	v_add_f32_e32 v90, v91, v90
	v_fmac_f32_e32 v92, 0x3f167918, v74
	v_fmac_f32_e32 v93, 0x3e9e377a, v90
	;; [unrolled: 1-line block ×3, first 2 shown]
	v_add_f32_e32 v90, v46, v62
	v_fmac_f32_e32 v56, -0.5, v90
	v_mov_b32_e32 v100, v56
	v_fmac_f32_e32 v100, 0x3f737871, v74
	v_fmac_f32_e32 v56, 0xbf737871, v74
	;; [unrolled: 1-line block ×4, first 2 shown]
	v_add_f32_e32 v72, v44, v60
	v_add_f32_e32 v72, v50, v72
	;; [unrolled: 1-line block ×5, first 2 shown]
	v_sub_f32_e32 v90, v48, v62
	v_sub_f32_e32 v91, v58, v46
	v_fma_f32 v72, -0.5, v72, v60
	v_add_f32_e32 v90, v91, v90
	v_sub_f32_e32 v91, v45, v53
	v_mov_b32_e32 v74, v72
	v_fmac_f32_e32 v100, 0x3e9e377a, v90
	v_fmac_f32_e32 v56, 0x3e9e377a, v90
	;; [unrolled: 1-line block ×3, first 2 shown]
	v_sub_f32_e32 v106, v51, v55
	v_sub_f32_e32 v90, v44, v50
	;; [unrolled: 1-line block ×3, first 2 shown]
	v_fmac_f32_e32 v72, 0x3f737871, v91
	v_fmac_f32_e32 v74, 0xbf167918, v106
	v_add_f32_e32 v90, v107, v90
	v_fmac_f32_e32 v72, 0x3f167918, v106
	v_fmac_f32_e32 v74, 0x3e9e377a, v90
	;; [unrolled: 1-line block ×3, first 2 shown]
	v_add_f32_e32 v90, v52, v44
	v_fmac_f32_e32 v60, -0.5, v90
	v_mov_b32_e32 v90, v60
	v_fmac_f32_e32 v90, 0x3f737871, v106
	v_fmac_f32_e32 v60, 0xbf737871, v106
	v_fmac_f32_e32 v90, 0xbf167918, v91
	v_fmac_f32_e32 v60, 0x3f167918, v91
	v_add_f32_e32 v91, v55, v51
	v_fma_f32 v91, -0.5, v91, v61
	v_sub_f32_e32 v107, v50, v44
	v_sub_f32_e32 v106, v44, v52
	v_mov_b32_e32 v44, v91
	v_sub_f32_e32 v108, v54, v52
	v_fmac_f32_e32 v44, 0x3f737871, v106
	v_sub_f32_e32 v54, v50, v54
	v_sub_f32_e32 v50, v45, v51
	;; [unrolled: 1-line block ×3, first 2 shown]
	v_fmac_f32_e32 v91, 0xbf737871, v106
	v_fmac_f32_e32 v44, 0x3f167918, v54
	v_add_f32_e32 v50, v52, v50
	v_fmac_f32_e32 v91, 0xbf167918, v54
	v_fmac_f32_e32 v44, 0x3e9e377a, v50
	;; [unrolled: 1-line block ×3, first 2 shown]
	v_add_f32_e32 v50, v53, v45
	v_fma_f32 v50, -0.5, v50, v61
	v_add_f32_e32 v107, v108, v107
	v_mov_b32_e32 v52, v50
	v_fmac_f32_e32 v90, 0x3e9e377a, v107
	v_fmac_f32_e32 v60, 0x3e9e377a, v107
	;; [unrolled: 1-line block ×3, first 2 shown]
	v_sub_f32_e32 v107, v51, v45
	v_sub_f32_e32 v108, v55, v53
	v_fmac_f32_e32 v50, 0x3f737871, v54
	v_mul_f32_e32 v54, 0xbf167918, v44
	v_fmac_f32_e32 v52, 0x3f167918, v106
	v_add_f32_e32 v107, v108, v107
	v_fmac_f32_e32 v50, 0xbf167918, v106
	v_fmac_f32_e32 v54, 0x3f4f1bbd, v74
	;; [unrolled: 1-line block ×4, first 2 shown]
	v_add_f32_e32 v107, v93, v54
	v_sub_f32_e32 v112, v93, v54
	v_add_f32_e32 v54, v24, v34
	v_add_f32_e32 v54, v30, v54
	v_mul_f32_e32 v113, 0xbf737871, v52
	v_add_f32_e32 v54, v32, v54
	v_add_f32_e32 v106, v101, v89
	v_fmac_f32_e32 v113, 0x3e9e377a, v90
	v_sub_f32_e32 v111, v89, v101
	v_add_f32_e32 v89, v38, v54
	v_add_f32_e32 v54, v32, v30
	;; [unrolled: 1-line block ×3, first 2 shown]
	v_mul_f32_e32 v114, 0xbf737871, v50
	v_mul_f32_e32 v115, 0xbf167918, v91
	v_sub_f32_e32 v113, v100, v113
	v_fma_f32 v100, -0.5, v54, v34
	v_fmac_f32_e32 v114, 0xbe9e377a, v60
	v_fmac_f32_e32 v115, 0xbf4f1bbd, v72
	v_sub_f32_e32 v54, v25, v39
	v_mov_b32_e32 v101, v100
	v_add_f32_e32 v109, v56, v114
	v_add_f32_e32 v110, v92, v115
	v_sub_f32_e32 v114, v56, v114
	v_sub_f32_e32 v115, v92, v115
	v_fmac_f32_e32 v101, 0xbf737871, v54
	v_sub_f32_e32 v56, v31, v33
	v_sub_f32_e32 v92, v24, v30
	;; [unrolled: 1-line block ×3, first 2 shown]
	v_fmac_f32_e32 v100, 0x3f737871, v54
	v_fmac_f32_e32 v101, 0xbf167918, v56
	v_add_f32_e32 v92, v93, v92
	v_fmac_f32_e32 v100, 0x3f167918, v56
	v_fmac_f32_e32 v101, 0x3e9e377a, v92
	;; [unrolled: 1-line block ×3, first 2 shown]
	v_add_f32_e32 v92, v38, v24
	v_fmac_f32_e32 v34, -0.5, v92
	v_mov_b32_e32 v121, v34
	v_fmac_f32_e32 v121, 0x3f737871, v56
	v_fmac_f32_e32 v34, 0xbf737871, v56
	;; [unrolled: 1-line block ×4, first 2 shown]
	s_waitcnt vmcnt(0)
	v_add_f32_e32 v54, v40, v42
	v_add_f32_e32 v54, v26, v54
	v_add_f32_e32 v54, v28, v54
	v_add_f32_e32 v122, v36, v54
	v_add_f32_e32 v54, v28, v26
	v_sub_f32_e32 v92, v30, v24
	v_sub_f32_e32 v93, v32, v38
	v_fma_f32 v54, -0.5, v54, v42
	v_add_f32_e32 v92, v93, v92
	v_sub_f32_e32 v93, v41, v37
	v_mov_b32_e32 v56, v54
	v_fmac_f32_e32 v121, 0x3e9e377a, v92
	v_fmac_f32_e32 v34, 0x3e9e377a, v92
	;; [unrolled: 1-line block ×3, first 2 shown]
	v_sub_f32_e32 v116, v27, v29
	v_sub_f32_e32 v92, v40, v26
	;; [unrolled: 1-line block ×3, first 2 shown]
	v_fmac_f32_e32 v54, 0x3f737871, v93
	v_fmac_f32_e32 v56, 0xbf167918, v116
	v_add_f32_e32 v92, v117, v92
	v_fmac_f32_e32 v54, 0x3f167918, v116
	v_fmac_f32_e32 v56, 0x3e9e377a, v92
	;; [unrolled: 1-line block ×3, first 2 shown]
	v_add_f32_e32 v92, v36, v40
	v_fmac_f32_e32 v42, -0.5, v92
	v_mov_b32_e32 v92, v42
	v_fmac_f32_e32 v92, 0x3f737871, v116
	v_fmac_f32_e32 v42, 0xbf737871, v116
	;; [unrolled: 1-line block ×4, first 2 shown]
	v_add_f32_e32 v93, v29, v27
	v_fma_f32 v93, -0.5, v93, v43
	v_sub_f32_e32 v117, v26, v40
	v_sub_f32_e32 v118, v28, v36
	;; [unrolled: 1-line block ×3, first 2 shown]
	v_mov_b32_e32 v36, v93
	v_fmac_f32_e32 v36, 0x3f737871, v40
	v_sub_f32_e32 v116, v26, v28
	v_sub_f32_e32 v26, v41, v27
	;; [unrolled: 1-line block ×3, first 2 shown]
	v_fmac_f32_e32 v93, 0xbf737871, v40
	v_fmac_f32_e32 v36, 0x3f167918, v116
	v_add_f32_e32 v26, v28, v26
	v_fmac_f32_e32 v93, 0xbf167918, v116
	v_fmac_f32_e32 v36, 0x3e9e377a, v26
	;; [unrolled: 1-line block ×3, first 2 shown]
	v_add_f32_e32 v26, v37, v41
	v_add_f32_e32 v117, v118, v117
	v_fma_f32 v26, -0.5, v26, v43
	v_fmac_f32_e32 v92, 0x3e9e377a, v117
	v_fmac_f32_e32 v42, 0x3e9e377a, v117
	v_mov_b32_e32 v28, v26
	v_sub_f32_e32 v117, v27, v41
	v_sub_f32_e32 v118, v29, v37
	v_fmac_f32_e32 v26, 0x3f737871, v116
	v_fmac_f32_e32 v28, 0xbf737871, v116
	v_add_f32_e32 v117, v118, v117
	v_fmac_f32_e32 v26, 0xbf167918, v40
	v_fmac_f32_e32 v28, 0x3f167918, v40
	;; [unrolled: 1-line block ×4, first 2 shown]
	v_mul_f32_e32 v124, 0xbf737871, v26
	v_mul_f32_e32 v123, 0xbf737871, v28
	v_fmac_f32_e32 v124, 0xbe9e377a, v42
	v_mul_f32_e32 v40, 0xbf167918, v36
	v_fmac_f32_e32 v123, 0x3e9e377a, v92
	v_add_f32_e32 v119, v34, v124
	v_sub_f32_e32 v124, v34, v124
	v_add_f32_e32 v34, v14, v12
	v_add_f32_e32 v116, v122, v89
	v_fmac_f32_e32 v40, 0x3f4f1bbd, v56
	v_add_f32_e32 v118, v121, v123
	v_sub_f32_e32 v121, v121, v123
	v_sub_f32_e32 v123, v89, v122
	v_fma_f32 v89, -0.5, v34, v2
	v_mul_u32_u24_e32 v34, 10, v86
	v_add_f32_e32 v117, v101, v40
	v_sub_f32_e32 v120, v101, v40
	v_mul_f32_e32 v40, 0xbf167918, v93
	v_lshl_add_u32 v101, v34, 2, 0
	v_fmac_f32_e32 v40, 0xbf4f1bbd, v54
	ds_write2_b64 v101, v[94:95], v[96:97] offset1:1
	v_sub_f32_e32 v34, v5, v21
	v_mov_b32_e32 v94, v89
	v_add_f32_e32 v122, v100, v40
	v_sub_f32_e32 v125, v100, v40
	v_fmac_f32_e32 v94, 0xbf737871, v34
	v_sub_f32_e32 v40, v4, v12
	v_sub_f32_e32 v95, v20, v14
	;; [unrolled: 1-line block ×3, first 2 shown]
	v_fmac_f32_e32 v89, 0x3f737871, v34
	v_add_f32_e32 v40, v95, v40
	v_fmac_f32_e32 v94, 0xbf167918, v97
	v_fmac_f32_e32 v89, 0x3f167918, v97
	;; [unrolled: 1-line block ×4, first 2 shown]
	v_sub_f32_e32 v40, v12, v4
	v_sub_f32_e32 v95, v14, v20
	v_add_f32_e32 v40, v95, v40
	v_add_f32_e32 v95, v20, v4
	v_fma_f32 v95, -0.5, v95, v2
	v_mov_b32_e32 v96, v95
	v_fmac_f32_e32 v96, 0x3f737871, v97
	v_fmac_f32_e32 v95, 0xbf737871, v97
	;; [unrolled: 1-line block ×4, first 2 shown]
	v_add_f32_e32 v34, v15, v13
	v_fma_f32 v97, -0.5, v34, v3
	ds_write2_b64 v101, v[98:99], v[102:103] offset0:2 offset1:3
	v_sub_f32_e32 v34, v4, v20
	v_mov_b32_e32 v98, v97
	v_fmac_f32_e32 v96, 0x3e9e377a, v40
	v_fmac_f32_e32 v95, 0x3e9e377a, v40
	;; [unrolled: 1-line block ×3, first 2 shown]
	v_sub_f32_e32 v40, v5, v13
	v_sub_f32_e32 v99, v21, v15
	;; [unrolled: 1-line block ×3, first 2 shown]
	v_fmac_f32_e32 v97, 0xbf737871, v34
	v_add_f32_e32 v40, v99, v40
	v_fmac_f32_e32 v98, 0x3f167918, v102
	v_fmac_f32_e32 v97, 0xbf167918, v102
	;; [unrolled: 1-line block ×4, first 2 shown]
	v_sub_f32_e32 v40, v13, v5
	v_sub_f32_e32 v99, v15, v21
	v_add_f32_e32 v40, v99, v40
	v_add_f32_e32 v99, v21, v5
	v_fma_f32 v99, -0.5, v99, v3
	v_mov_b32_e32 v100, v99
	v_fmac_f32_e32 v100, 0xbf737871, v102
	v_fmac_f32_e32 v99, 0x3f737871, v102
	;; [unrolled: 1-line block ×4, first 2 shown]
	s_mov_b32 s7, 0x3f737871
	s_mov_b32 s6, 0x3f167918
	v_fmac_f32_e32 v100, 0x3e9e377a, v40
	v_fmac_f32_e32 v99, 0x3e9e377a, v40
	ds_write_b64 v101, v[104:105] offset:32
	v_add_u32_e32 v102, 0x960, v101
	v_add_u32_e32 v103, 0x970, v101
	;; [unrolled: 1-line block ×4, first 2 shown]
	v_cmp_gt_u32_e32 vcc, 36, v86
	ds_write2_b64 v102, v[106:107], v[108:109] offset1:1
	ds_write2_b64 v103, v[110:111], v[112:113] offset1:1
	ds_write_b64 v101, v[114:115] offset:2432
	ds_write2_b64 v104, v[116:117], v[118:119] offset1:1
	ds_write2_b64 v105, v[122:123], v[120:121] offset1:1
	ds_write_b64 v101, v[124:125] offset:4832
	s_and_saveexec_b64 s[4:5], vcc
	s_cbranch_execz .LBB0_17
; %bb.16:
	v_sub_f32_e32 v34, v6, v16
	v_sub_f32_e32 v40, v22, v18
	v_add_f32_e32 v34, v40, v34
	v_add_f32_e32 v40, v18, v16
	v_sub_f32_e32 v106, v16, v6
	v_sub_f32_e32 v109, v18, v22
	v_fma_f32 v40, -0.5, v40, v0
	v_add_f32_e32 v109, v109, v106
	v_add_f32_e32 v106, v22, v6
	v_sub_f32_e32 v108, v7, v23
	v_mov_b32_e32 v110, v40
	v_fma_f32 v114, -0.5, v106, v0
	v_fmac_f32_e32 v110, 0x3f737871, v108
	v_sub_f32_e32 v111, v17, v19
	v_mov_b32_e32 v113, v114
	v_fmac_f32_e32 v40, 0xbf737871, v108
	v_add_f32_e32 v0, v6, v0
	v_add_f32_e32 v2, v4, v2
	v_fmac_f32_e32 v110, 0x3f167918, v111
	v_fmac_f32_e32 v113, 0xbf737871, v111
	;; [unrolled: 1-line block ×4, first 2 shown]
	v_add_f32_e32 v0, v16, v0
	v_add_f32_e32 v2, v12, v2
	v_fmac_f32_e32 v110, 0x3e9e377a, v34
	v_mul_f32_e32 v112, 0xbf167918, v97
	v_fmac_f32_e32 v113, 0x3f167918, v108
	v_mul_f32_e32 v115, 0xbf737871, v99
	v_fmac_f32_e32 v114, 0xbf167918, v108
	v_mul_f32_e32 v116, 0xbf737871, v100
	v_fmac_f32_e32 v40, 0x3e9e377a, v34
	v_mul_f32_e32 v34, 0xbf167918, v98
	v_add_f32_e32 v0, v18, v0
	v_add_f32_e32 v2, v14, v2
	v_fmac_f32_e32 v112, 0xbf4f1bbd, v89
	v_fmac_f32_e32 v113, 0x3e9e377a, v109
	;; [unrolled: 1-line block ×6, first 2 shown]
	v_add_f32_e32 v0, v22, v0
	v_add_f32_e32 v2, v20, v2
	v_sub_f32_e32 v107, v110, v112
	v_sub_f32_e32 v106, v113, v115
	;; [unrolled: 1-line block ×4, first 2 shown]
	v_add_f32_e32 v110, v110, v112
	v_add_f32_e32 v113, v113, v115
	;; [unrolled: 1-line block ×5, first 2 shown]
	v_add_u32_e32 v0, 0x1c20, v101
	v_sub_f32_e32 v108, v40, v34
	ds_write2_b64 v0, v[114:115], v[112:113] offset1:1
	v_add_u32_e32 v0, 0x1c30, v101
	ds_write2_b64 v0, v[110:111], v[108:109] offset1:1
	ds_write_b64 v101, v[106:107] offset:7232
.LBB0_17:
	s_or_b64 exec, exec, s[4:5]
	v_add_f32_e32 v2, v77, v69
	v_fma_f32 v2, -0.5, v2, v75
	v_sub_f32_e32 v4, v82, v78
	v_mov_b32_e32 v12, v2
	v_fmac_f32_e32 v12, 0x3f737871, v4
	v_sub_f32_e32 v14, v68, v76
	v_sub_f32_e32 v20, v83, v69
	;; [unrolled: 1-line block ×3, first 2 shown]
	v_fmac_f32_e32 v2, 0xbf737871, v4
	v_fmac_f32_e32 v12, 0x3f167918, v14
	v_add_f32_e32 v20, v34, v20
	v_fmac_f32_e32 v2, 0xbf167918, v14
	v_fmac_f32_e32 v12, 0x3e9e377a, v20
	;; [unrolled: 1-line block ×3, first 2 shown]
	v_add_f32_e32 v20, v79, v83
	v_add_f32_e32 v0, v83, v75
	v_fmac_f32_e32 v75, -0.5, v20
	v_mov_b32_e32 v20, v75
	v_fmac_f32_e32 v20, 0xbf737871, v14
	v_fmac_f32_e32 v75, 0x3f737871, v14
	v_mul_f32_e32 v14, 0x3f167918, v85
	v_fmac_f32_e32 v20, 0x3f167918, v4
	v_sub_f32_e32 v34, v69, v83
	v_sub_f32_e32 v40, v77, v79
	v_fmac_f32_e32 v75, 0xbf167918, v4
	v_add_f32_e32 v4, v65, v81
	v_fmac_f32_e32 v14, 0x3f4f1bbd, v64
	v_mul_f32_e32 v64, 0x3f4f1bbd, v88
	v_add_f32_e32 v0, v69, v0
	v_add_f32_e32 v34, v40, v34
	;; [unrolled: 1-line block ×3, first 2 shown]
	v_mul_f32_e32 v40, 0x3e9e377a, v66
	v_fma_f32 v64, v84, s6, -v64
	v_add_f32_e32 v0, v77, v0
	v_add_f32_e32 v4, v71, v4
	v_fma_f32 v40, v80, s7, -v40
	v_add_f32_e32 v80, v2, v64
	v_sub_f32_e32 v85, v2, v64
	v_add_f32_e32 v2, v59, v49
	v_add_f32_e32 v0, v79, v0
	v_fmac_f32_e32 v20, 0x3e9e377a, v34
	v_fmac_f32_e32 v75, 0x3e9e377a, v34
	v_add_f32_e32 v4, v73, v4
	v_mul_f32_e32 v34, 0x3f737871, v87
	v_fma_f32 v2, -0.5, v2, v57
	v_add_f32_e32 v76, v4, v0
	v_add_f32_e32 v77, v12, v14
	v_fmac_f32_e32 v34, 0x3e9e377a, v70
	v_sub_f32_e32 v81, v0, v4
	v_sub_f32_e32 v82, v12, v14
	;; [unrolled: 1-line block ×3, first 2 shown]
	v_mov_b32_e32 v12, v2
	v_add_f32_e32 v78, v20, v34
	v_sub_f32_e32 v83, v20, v34
	v_fmac_f32_e32 v12, 0x3f737871, v4
	v_sub_f32_e32 v14, v48, v58
	v_sub_f32_e32 v20, v63, v49
	;; [unrolled: 1-line block ×3, first 2 shown]
	v_fmac_f32_e32 v2, 0xbf737871, v4
	v_fmac_f32_e32 v12, 0x3f167918, v14
	v_add_f32_e32 v20, v34, v20
	v_fmac_f32_e32 v2, 0xbf167918, v14
	v_fmac_f32_e32 v12, 0x3e9e377a, v20
	;; [unrolled: 1-line block ×3, first 2 shown]
	v_add_f32_e32 v20, v47, v63
	v_add_f32_e32 v0, v63, v57
	v_fmac_f32_e32 v57, -0.5, v20
	v_mov_b32_e32 v20, v57
	v_fmac_f32_e32 v20, 0xbf737871, v14
	v_fmac_f32_e32 v57, 0x3f737871, v14
	v_mul_f32_e32 v14, 0x3f167918, v74
	v_fmac_f32_e32 v20, 0x3f167918, v4
	v_fmac_f32_e32 v57, 0xbf167918, v4
	v_add_f32_e32 v4, v45, v61
	v_fmac_f32_e32 v14, 0x3f4f1bbd, v44
	v_mul_f32_e32 v44, 0x3f4f1bbd, v91
	v_add_f32_e32 v79, v75, v40
	v_sub_f32_e32 v84, v75, v40
	v_add_f32_e32 v0, v49, v0
	v_sub_f32_e32 v34, v49, v63
	v_sub_f32_e32 v40, v59, v47
	v_add_f32_e32 v4, v51, v4
	v_fma_f32 v44, v72, s6, -v44
	v_add_f32_e32 v0, v59, v0
	v_add_f32_e32 v34, v40, v34
	;; [unrolled: 1-line block ×4, first 2 shown]
	v_sub_f32_e32 v107, v2, v44
	v_add_f32_e32 v2, v33, v31
	v_add_f32_e32 v0, v47, v0
	v_fmac_f32_e32 v20, 0x3e9e377a, v34
	v_fmac_f32_e32 v57, 0x3e9e377a, v34
	v_add_f32_e32 v4, v53, v4
	v_mul_f32_e32 v34, 0x3f737871, v90
	v_fma_f32 v2, -0.5, v2, v35
	v_add_f32_e32 v73, v4, v0
	v_add_f32_e32 v74, v12, v14
	v_fmac_f32_e32 v34, 0x3e9e377a, v52
	v_sub_f32_e32 v72, v0, v4
	v_sub_f32_e32 v90, v12, v14
	;; [unrolled: 1-line block ×3, first 2 shown]
	v_mov_b32_e32 v12, v2
	v_add_f32_e32 v87, v20, v34
	v_sub_f32_e32 v91, v20, v34
	v_fmac_f32_e32 v12, 0x3f737871, v4
	v_sub_f32_e32 v14, v30, v32
	v_sub_f32_e32 v20, v25, v31
	;; [unrolled: 1-line block ×3, first 2 shown]
	v_fmac_f32_e32 v2, 0xbf737871, v4
	v_fmac_f32_e32 v12, 0x3f167918, v14
	v_add_f32_e32 v20, v24, v20
	v_fmac_f32_e32 v2, 0xbf167918, v14
	v_fmac_f32_e32 v12, 0x3e9e377a, v20
	v_fmac_f32_e32 v2, 0x3e9e377a, v20
	v_add_f32_e32 v20, v39, v25
	v_add_f32_e32 v0, v25, v35
	v_fmac_f32_e32 v35, -0.5, v20
	v_mov_b32_e32 v20, v35
	v_fmac_f32_e32 v20, 0xbf737871, v14
	v_fmac_f32_e32 v35, 0x3f737871, v14
	;; [unrolled: 1-line block ×3, first 2 shown]
	v_sub_f32_e32 v24, v31, v25
	v_sub_f32_e32 v25, v33, v39
	v_fmac_f32_e32 v35, 0xbf167918, v4
	v_add_f32_e32 v4, v41, v43
	v_add_f32_e32 v0, v31, v0
	;; [unrolled: 1-line block ×5, first 2 shown]
	v_fmac_f32_e32 v20, 0x3e9e377a, v24
	v_fmac_f32_e32 v35, 0x3e9e377a, v24
	v_add_f32_e32 v4, v29, v4
	v_mul_f32_e32 v24, 0x3f737871, v92
	v_mul_f32_e32 v40, 0x3e9e377a, v50
	v_add_f32_e32 v0, v39, v0
	v_add_f32_e32 v4, v37, v4
	v_fmac_f32_e32 v24, 0x3e9e377a, v28
	v_mul_f32_e32 v25, 0x3e9e377a, v26
	v_mul_f32_e32 v26, 0x3f4f1bbd, v93
	v_lshl_add_u32 v64, v86, 2, 0
	v_fma_f32 v40, v60, s7, -v40
	v_add_f32_e32 v108, v4, v0
	v_mul_f32_e32 v14, 0x3f167918, v56
	v_add_f32_e32 v110, v20, v24
	v_fma_f32 v25, v42, s7, -v25
	v_fma_f32 v26, v54, s6, -v26
	v_sub_f32_e32 v93, v0, v4
	v_sub_f32_e32 v113, v20, v24
	v_add_u32_e32 v4, 0x400, v64
	v_add_u32_e32 v68, 0xa00, v64
	;; [unrolled: 1-line block ×10, first 2 shown]
	v_add_f32_e32 v88, v57, v40
	v_sub_f32_e32 v106, v57, v40
	v_fmac_f32_e32 v14, 0x3f4f1bbd, v36
	v_add_f32_e32 v111, v35, v25
	v_add_f32_e32 v92, v2, v26
	v_sub_f32_e32 v114, v35, v25
	v_sub_f32_e32 v115, v2, v26
	s_waitcnt lgkmcnt(0)
	; wave barrier
	s_waitcnt lgkmcnt(0)
	ds_read2_b32 v[28:29], v64 offset1:60
	ds_read2_b32 v[56:57], v4 offset0:104 offset1:164
	ds_read2_b32 v[58:59], v68 offset0:80 offset1:140
	;; [unrolled: 1-line block ×16, first 2 shown]
	v_add_u32_e32 v70, 0x1e00, v64
	ds_read2_b32 v[30:31], v70 offset0:120 offset1:180
	v_add_f32_e32 v109, v12, v14
	v_sub_f32_e32 v112, v12, v14
	v_add_u32_e32 v12, 0xb4, v86
	s_waitcnt lgkmcnt(0)
	; wave barrier
	s_waitcnt lgkmcnt(0)
	ds_write2_b64 v101, v[76:77], v[78:79] offset1:1
	ds_write2_b64 v101, v[80:81], v[82:83] offset0:2 offset1:3
	ds_write_b64 v101, v[84:85] offset:32
	ds_write2_b64 v102, v[73:74], v[87:88] offset1:1
	ds_write2_b64 v103, v[71:72], v[90:91] offset1:1
	ds_write_b64 v101, v[106:107] offset:2432
	ds_write2_b64 v104, v[108:109], v[110:111] offset1:1
	ds_write2_b64 v105, v[92:93], v[112:113] offset1:1
	ds_write_b64 v101, v[114:115] offset:4832
	s_and_saveexec_b64 s[4:5], vcc
	s_cbranch_execz .LBB0_19
; %bb.18:
	v_add_f32_e32 v2, v19, v17
	v_fma_f32 v65, -0.5, v2, v1
	v_sub_f32_e32 v2, v6, v22
	v_mov_b32_e32 v22, v65
	v_fmac_f32_e32 v22, 0x3f737871, v2
	v_sub_f32_e32 v6, v16, v18
	v_sub_f32_e32 v14, v7, v17
	;; [unrolled: 1-line block ×3, first 2 shown]
	v_fmac_f32_e32 v65, 0xbf737871, v2
	v_fmac_f32_e32 v22, 0x3f167918, v6
	v_add_f32_e32 v14, v16, v14
	v_fmac_f32_e32 v65, 0xbf167918, v6
	v_fmac_f32_e32 v22, 0x3e9e377a, v14
	;; [unrolled: 1-line block ×3, first 2 shown]
	v_add_f32_e32 v14, v23, v7
	v_add_f32_e32 v0, v7, v1
	v_fmac_f32_e32 v1, -0.5, v14
	v_mov_b32_e32 v16, v1
	v_fmac_f32_e32 v16, 0xbf737871, v6
	v_fmac_f32_e32 v1, 0x3f737871, v6
	;; [unrolled: 1-line block ×4, first 2 shown]
	v_add_f32_e32 v2, v5, v3
	v_add_f32_e32 v0, v17, v0
	v_sub_f32_e32 v7, v17, v7
	v_sub_f32_e32 v14, v19, v23
	v_add_f32_e32 v2, v13, v2
	v_add_f32_e32 v0, v19, v0
	;; [unrolled: 1-line block ×5, first 2 shown]
	s_mov_b32 s6, 0x3f737871
	v_fmac_f32_e32 v16, 0x3e9e377a, v7
	v_fmac_f32_e32 v1, 0x3e9e377a, v7
	v_add_f32_e32 v7, v21, v2
	v_mul_f32_e32 v15, 0x3f167918, v94
	v_mul_f32_e32 v17, 0x3f737871, v96
	;; [unrolled: 1-line block ×3, first 2 shown]
	s_mov_b32 s7, 0x3f167918
	v_add_f32_e32 v2, v7, v0
	v_fmac_f32_e32 v15, 0x3f4f1bbd, v98
	v_fmac_f32_e32 v17, 0x3e9e377a, v100
	v_fma_f32 v18, v95, s6, -v6
	v_mul_f32_e32 v13, 0x3f4f1bbd, v97
	v_sub_f32_e32 v14, v0, v7
	v_mul_u32_u24_e32 v7, 10, v12
	v_add_f32_e32 v3, v22, v15
	v_add_f32_e32 v5, v16, v17
	;; [unrolled: 1-line block ×3, first 2 shown]
	v_fma_f32 v19, v89, s7, -v13
	v_lshl_add_u32 v7, v7, 2, 0
	v_add_f32_e32 v13, v65, v19
	v_sub_f32_e32 v15, v22, v15
	v_sub_f32_e32 v16, v16, v17
	;; [unrolled: 1-line block ×4, first 2 shown]
	ds_write2_b64 v7, v[2:3], v[5:6] offset1:1
	ds_write2_b64 v7, v[13:14], v[15:16] offset0:2 offset1:3
	ds_write_b64 v7, v[0:1] offset:32
.LBB0_19:
	s_or_b64 exec, exec, s[4:5]
	s_movk_i32 s4, 0xcd
	v_mul_lo_u16_sdwa v0, v86, s4 dst_sel:DWORD dst_unused:UNUSED_PAD src0_sel:BYTE_0 src1_sel:DWORD
	v_lshrrev_b16_e32 v0, 11, v0
	v_mul_lo_u16_e32 v1, 10, v0
	v_sub_u16_e32 v1, v86, v1
	v_mov_b32_e32 v5, 5
	v_mul_u32_u24_sdwa v2, v1, v5 dst_sel:DWORD dst_unused:UNUSED_PAD src0_sel:BYTE_0 src1_sel:DWORD
	v_add_u16_e32 v3, 60, v86
	v_lshlrev_b32_e32 v23, 3, v2
	v_mul_lo_u16_sdwa v2, v3, s4 dst_sel:DWORD dst_unused:UNUSED_PAD src0_sel:BYTE_0 src1_sel:DWORD
	v_lshrrev_b16_e32 v2, 11, v2
	v_mul_lo_u16_e32 v6, 10, v2
	s_waitcnt lgkmcnt(0)
	; wave barrier
	s_waitcnt lgkmcnt(0)
	global_load_dwordx4 v[71:74], v23, s[12:13]
	v_sub_u16_e32 v3, v3, v6
	v_mul_u32_u24_sdwa v6, v3, v5 dst_sel:DWORD dst_unused:UNUSED_PAD src0_sel:BYTE_0 src1_sel:DWORD
	v_lshlrev_b32_e32 v85, 3, v6
	global_load_dwordx4 v[75:78], v85, s[12:13]
	global_load_dwordx4 v[79:82], v23, s[12:13] offset:16
	global_load_dwordx4 v[87:90], v85, s[12:13] offset:16
	v_add_u16_e32 v6, 0x78, v86
	v_mul_lo_u16_sdwa v7, v6, s4 dst_sel:DWORD dst_unused:UNUSED_PAD src0_sel:BYTE_0 src1_sel:DWORD
	v_lshrrev_b16_e32 v7, 11, v7
	v_mul_lo_u16_e32 v13, 10, v7
	v_sub_u16_e32 v13, v6, v13
	v_mul_u32_u24_sdwa v14, v13, v5 dst_sel:DWORD dst_unused:UNUSED_PAD src0_sel:BYTE_0 src1_sel:DWORD
	v_lshlrev_b32_e32 v123, 3, v14
	v_mul_lo_u16_sdwa v14, v12, s4 dst_sel:DWORD dst_unused:UNUSED_PAD src0_sel:BYTE_0 src1_sel:DWORD
	v_lshrrev_b16_e32 v14, 11, v14
	v_mul_lo_u16_e32 v15, 10, v14
	global_load_dwordx4 v[91:94], v123, s[12:13]
	v_sub_u16_e32 v15, v12, v15
	v_mul_u32_u24_sdwa v5, v15, v5 dst_sel:DWORD dst_unused:UNUSED_PAD src0_sel:BYTE_0 src1_sel:DWORD
	v_lshlrev_b32_e32 v17, 3, v5
	global_load_dwordx4 v[95:98], v17, s[12:13]
	ds_read2_b32 v[21:22], v64 offset1:60
	ds_read2_b32 v[18:19], v4 offset0:104 offset1:164
	global_load_dwordx4 v[99:102], v123, s[12:13] offset:16
	v_add_u32_e32 v5, 0xf0, v86
	s_mov_b32 s4, 0xcccd
	ds_read2_b32 v[83:84], v68 offset0:80 offset1:140
	ds_read2_b32 v[107:108], v62 offset0:56 offset1:116
	;; [unrolled: 1-line block ×5, first 2 shown]
	v_mul_u32_u24_sdwa v16, v5, s4 dst_sel:DWORD dst_unused:UNUSED_PAD src0_sel:WORD_0 src1_sel:DWORD
	global_load_dwordx2 v[115:116], v17, s[12:13] offset:32
	global_load_dwordx4 v[103:106], v17, s[12:13] offset:16
	v_lshrrev_b32_e32 v16, 19, v16
	v_mul_lo_u16_e32 v17, 10, v16
	v_sub_u16_e32 v17, v5, v17
	v_mul_u32_u24_e32 v117, 5, v17
	v_lshlrev_b32_e32 v124, 3, v117
	global_load_dwordx2 v[117:118], v23, s[12:13] offset:32
	global_load_dwordx2 v[119:120], v85, s[12:13] offset:32
	;; [unrolled: 1-line block ×3, first 2 shown]
	v_add_u32_e32 v65, 0x12c, v86
	v_mul_u32_u24_e32 v0, 0xf0, v0
	s_waitcnt vmcnt(11) lgkmcnt(5)
	v_mul_f32_e32 v23, v18, v72
	v_mul_f32_e32 v72, v56, v72
	v_fma_f32 v125, v18, v71, -v72
	s_waitcnt vmcnt(10)
	v_mul_f32_e32 v18, v59, v78
	s_waitcnt lgkmcnt(4)
	v_fma_f32 v129, v84, v77, -v18
	s_waitcnt vmcnt(9)
	v_mul_f32_e32 v18, v54, v80
	v_mul_f32_e32 v85, v83, v74
	v_mul_f32_e32 v74, v58, v74
	v_mul_f32_e32 v123, v19, v76
	v_mul_f32_e32 v127, v84, v78
	s_waitcnt lgkmcnt(3)
	v_mul_f32_e32 v130, v107, v80
	v_fma_f32 v107, v107, v79, -v18
	s_waitcnt vmcnt(8) lgkmcnt(2)
	v_mul_f32_e32 v133, v110, v90
	v_mul_f32_e32 v18, v53, v90
	;; [unrolled: 1-line block ×3, first 2 shown]
	v_fmac_f32_e32 v23, v56, v71
	v_fmac_f32_e32 v85, v58, v73
	v_fma_f32 v126, v83, v73, -v74
	v_fmac_f32_e32 v123, v57, v75
	v_fmac_f32_e32 v127, v59, v77
	global_load_dwordx4 v[56:59], v124, s[12:13] offset:16
	global_load_dwordx4 v[71:74], v124, s[12:13]
	v_fmac_f32_e32 v133, v53, v89
	v_fma_f32 v89, v110, v89, -v18
	v_mul_u32_u24_sdwa v18, v65, s4 dst_sel:DWORD dst_unused:UNUSED_PAD src0_sel:WORD_0 src1_sel:DWORD
	v_fma_f32 v128, v19, v75, -v76
	v_mul_f32_e32 v19, v52, v82
	v_lshrrev_b32_e32 v18, 19, v18
	v_mul_f32_e32 v131, v109, v82
	v_fma_f32 v109, v109, v81, -v19
	v_mul_lo_u16_e32 v19, 10, v18
	v_sub_u16_e32 v19, v65, v19
	v_fmac_f32_e32 v131, v52, v81
	v_mul_u32_u24_e32 v52, 5, v19
	v_mul_f32_e32 v132, v108, v88
	v_lshlrev_b32_e32 v83, 3, v52
	v_mul_f32_e32 v75, v55, v88
	v_fmac_f32_e32 v130, v54, v79
	v_fmac_f32_e32 v132, v55, v87
	global_load_dwordx2 v[79:80], v124, s[12:13] offset:32
	global_load_dwordx4 v[52:55], v83, s[12:13]
	v_fma_f32 v108, v108, v87, -v75
	global_load_dwordx2 v[81:82], v83, s[12:13] offset:32
	global_load_dwordx4 v[75:78], v83, s[12:13] offset:16
	s_waitcnt vmcnt(13) lgkmcnt(1)
	v_mul_f32_e32 v90, v111, v92
	v_fmac_f32_e32 v90, v50, v91
	v_mul_f32_e32 v50, v50, v92
	s_waitcnt lgkmcnt(0)
	v_mul_f32_e32 v92, v113, v94
	v_fmac_f32_e32 v92, v48, v93
	v_mul_f32_e32 v48, v48, v94
	v_fma_f32 v93, v113, v93, -v48
	s_waitcnt vmcnt(12)
	v_mul_f32_e32 v94, v112, v96
	v_mul_f32_e32 v48, v51, v96
	v_fma_f32 v91, v111, v91, -v50
	v_fmac_f32_e32 v94, v51, v95
	v_fma_f32 v95, v112, v95, -v48
	ds_read2_b32 v[50:51], v62 offset0:176 offset1:236
	v_mul_f32_e32 v96, v114, v98
	v_mul_f32_e32 v48, v49, v98
	v_fmac_f32_e32 v96, v49, v97
	v_fma_f32 v97, v114, v97, -v48
	ds_read2_b32 v[48:49], v69 offset0:24 offset1:84
	s_waitcnt vmcnt(11) lgkmcnt(1)
	v_mul_f32_e32 v98, v50, v100
	v_fmac_f32_e32 v98, v46, v99
	v_mul_f32_e32 v46, v46, v100
	v_fma_f32 v99, v50, v99, -v46
	s_waitcnt lgkmcnt(0)
	v_mul_f32_e32 v100, v48, v102
	v_fmac_f32_e32 v100, v44, v101
	v_mul_f32_e32 v44, v44, v102
	s_waitcnt vmcnt(9)
	v_mul_f32_e32 v102, v51, v104
	v_fma_f32 v101, v48, v101, -v44
	ds_read2_b32 v[83:84], v66 offset0:8 offset1:68
	ds_read2_b32 v[87:88], v64 offset0:120 offset1:180
	v_fmac_f32_e32 v102, v47, v103
	v_mul_f32_e32 v44, v47, v104
	ds_read2_b32 v[46:47], v66 offset0:128 offset1:188
	v_fma_f32 v103, v51, v103, -v44
	v_mul_f32_e32 v104, v49, v106
	v_mul_f32_e32 v44, v45, v106
	v_fmac_f32_e32 v104, v45, v105
	v_fma_f32 v105, v49, v105, -v44
	ds_read2_b32 v[44:45], v61 offset0:88 offset1:148
	ds_read2_b32 v[48:49], v67 offset0:192 offset1:252
	s_waitcnt vmcnt(6) lgkmcnt(2)
	v_mul_f32_e32 v113, v46, v122
	v_fmac_f32_e32 v113, v40, v121
	v_mul_f32_e32 v40, v40, v122
	ds_read2_b32 v[50:51], v60 offset0:40 offset1:100
	v_fma_f32 v46, v46, v121, -v40
	v_mul_f32_e32 v114, v47, v116
	v_mul_f32_e32 v40, v41, v116
	v_fmac_f32_e32 v114, v41, v115
	v_fma_f32 v47, v47, v115, -v40
	v_mul_f32_e32 v106, v83, v118
	v_fmac_f32_e32 v106, v42, v117
	v_mul_f32_e32 v42, v42, v118
	v_fma_f32 v110, v83, v117, -v42
	v_mul_f32_e32 v111, v84, v120
	v_mul_f32_e32 v42, v43, v120
	v_fmac_f32_e32 v111, v43, v119
	v_fma_f32 v112, v84, v119, -v42
	ds_read2_b32 v[42:43], v69 offset0:144 offset1:204
	ds_read2_b32 v[83:84], v70 offset0:120 offset1:180
	;; [unrolled: 1-line block ×3, first 2 shown]
	s_waitcnt vmcnt(4) lgkmcnt(0)
	v_mul_f32_e32 v115, v44, v72
	v_fmac_f32_e32 v115, v38, v71
	v_mul_f32_e32 v38, v38, v72
	v_fma_f32 v38, v44, v71, -v38
	v_mul_f32_e32 v44, v48, v74
	v_fmac_f32_e32 v44, v36, v73
	v_mul_f32_e32 v36, v36, v74
	v_fma_f32 v36, v48, v73, -v36
	;; [unrolled: 4-line block ×4, first 2 shown]
	v_add_f32_e32 v58, v130, v106
	v_add_f32_e32 v71, v107, v110
	s_waitcnt vmcnt(3)
	v_mul_f32_e32 v42, v83, v80
	s_waitcnt vmcnt(2)
	v_mul_f32_e32 v56, v45, v53
	v_fmac_f32_e32 v56, v39, v52
	v_mul_f32_e32 v39, v39, v53
	v_fma_f32 v39, v45, v52, -v39
	v_mul_f32_e32 v45, v49, v55
	v_add_f32_e32 v53, v85, v131
	v_fmac_f32_e32 v45, v37, v54
	v_mul_f32_e32 v37, v37, v55
	v_add_f32_e32 v52, v28, v85
	v_fma_f32 v28, -0.5, v53, v28
	v_fma_f32 v37, v49, v54, -v37
	v_sub_f32_e32 v53, v126, v109
	v_mov_b32_e32 v54, v28
	v_add_f32_e32 v55, v126, v109
	v_fmac_f32_e32 v54, 0xbf5db3d7, v53
	v_fmac_f32_e32 v28, 0x3f5db3d7, v53
	v_add_f32_e32 v53, v21, v126
	v_fma_f32 v21, -0.5, v55, v21
	v_sub_f32_e32 v55, v85, v131
	v_mov_b32_e32 v57, v21
	v_fmac_f32_e32 v57, 0x3f5db3d7, v55
	v_fmac_f32_e32 v21, 0xbf5db3d7, v55
	v_add_f32_e32 v55, v23, v130
	v_fmac_f32_e32 v23, -0.5, v58
	v_sub_f32_e32 v58, v107, v110
	v_mov_b32_e32 v59, v23
	v_fmac_f32_e32 v59, 0xbf5db3d7, v58
	v_fmac_f32_e32 v23, 0x3f5db3d7, v58
	v_add_f32_e32 v58, v125, v107
	v_fmac_f32_e32 v125, -0.5, v71
	v_sub_f32_e32 v71, v130, v106
	v_mov_b32_e32 v72, v125
	v_fmac_f32_e32 v72, 0x3f5db3d7, v71
	v_mul_f32_e32 v73, 0xbf5db3d7, v72
	v_mul_f32_e32 v72, 0.5, v72
	v_fmac_f32_e32 v72, 0x3f5db3d7, v59
	s_waitcnt vmcnt(0)
	v_mul_f32_e32 v49, v51, v76
	v_add_f32_e32 v52, v52, v131
	v_add_f32_e32 v53, v53, v109
	;; [unrolled: 1-line block ×4, first 2 shown]
	v_fmac_f32_e32 v73, 0.5, v59
	v_add_f32_e32 v59, v57, v72
	v_sub_f32_e32 v106, v57, v72
	v_add_f32_e32 v57, v127, v133
	v_fmac_f32_e32 v49, v35, v75
	v_mul_f32_e32 v35, v35, v76
	v_fmac_f32_e32 v125, 0xbf5db3d7, v71
	v_add_f32_e32 v71, v52, v55
	v_add_f32_e32 v85, v53, v58
	v_sub_f32_e32 v52, v52, v55
	v_sub_f32_e32 v55, v53, v58
	v_add_f32_e32 v53, v29, v127
	v_fmac_f32_e32 v29, -0.5, v57
	v_fma_f32 v35, v51, v75, -v35
	v_mul_f32_e32 v51, v43, v78
	v_mul_f32_e32 v75, 0xbf5db3d7, v125
	v_sub_f32_e32 v57, v129, v89
	v_mov_b32_e32 v58, v29
	v_add_f32_e32 v72, v129, v89
	v_fmac_f32_e32 v51, v33, v77
	v_mul_f32_e32 v33, v33, v78
	v_fmac_f32_e32 v75, -0.5, v23
	v_fmac_f32_e32 v58, 0xbf5db3d7, v57
	v_fmac_f32_e32 v29, 0x3f5db3d7, v57
	v_add_f32_e32 v57, v22, v129
	v_fmac_f32_e32 v22, -0.5, v72
	v_fma_f32 v33, v43, v77, -v33
	v_add_f32_e32 v74, v54, v73
	v_add_f32_e32 v76, v28, v75
	v_mul_f32_e32 v77, -0.5, v125
	v_sub_f32_e32 v54, v54, v73
	v_sub_f32_e32 v28, v28, v75
	;; [unrolled: 1-line block ×3, first 2 shown]
	v_mov_b32_e32 v73, v22
	v_add_f32_e32 v75, v132, v111
	v_fmac_f32_e32 v77, 0x3f5db3d7, v23
	v_fmac_f32_e32 v73, 0x3f5db3d7, v72
	v_fmac_f32_e32 v22, 0xbf5db3d7, v72
	v_add_f32_e32 v72, v123, v132
	v_fmac_f32_e32 v123, -0.5, v75
	v_add_f32_e32 v23, v21, v77
	v_sub_f32_e32 v21, v21, v77
	v_sub_f32_e32 v75, v108, v112
	v_mov_b32_e32 v77, v123
	v_add_f32_e32 v78, v108, v112
	v_fmac_f32_e32 v42, v30, v79
	v_mul_f32_e32 v30, v30, v80
	v_fmac_f32_e32 v77, 0xbf5db3d7, v75
	v_fmac_f32_e32 v123, 0x3f5db3d7, v75
	v_add_f32_e32 v75, v128, v108
	v_fmac_f32_e32 v128, -0.5, v78
	v_fma_f32 v30, v83, v79, -v30
	v_sub_f32_e32 v78, v132, v111
	v_mov_b32_e32 v79, v128
	v_fmac_f32_e32 v79, 0x3f5db3d7, v78
	v_add_f32_e32 v57, v57, v89
	v_add_f32_e32 v75, v75, v112
	v_fmac_f32_e32 v128, 0xbf5db3d7, v78
	v_mul_f32_e32 v80, 0xbf5db3d7, v79
	v_mul_f32_e32 v79, 0.5, v79
	v_mul_f32_e32 v43, v84, v82
	v_fmac_f32_e32 v80, 0.5, v77
	v_add_f32_e32 v107, v57, v75
	v_fmac_f32_e32 v79, 0x3f5db3d7, v77
	v_mul_f32_e32 v77, -0.5, v128
	v_sub_f32_e32 v110, v57, v75
	v_add_f32_e32 v75, v93, v101
	v_fmac_f32_e32 v43, v31, v81
	v_mul_f32_e32 v31, v31, v82
	v_fmac_f32_e32 v77, 0x3f5db3d7, v123
	v_fma_f32 v75, -0.5, v75, v87
	v_fma_f32 v31, v84, v81, -v31
	v_add_f32_e32 v72, v72, v111
	v_add_f32_e32 v81, v58, v80
	v_mul_f32_e32 v82, 0xbf5db3d7, v128
	v_add_f32_e32 v108, v73, v79
	v_add_f32_e32 v109, v22, v77
	v_sub_f32_e32 v58, v58, v80
	v_sub_f32_e32 v111, v73, v79
	;; [unrolled: 1-line block ×4, first 2 shown]
	v_mov_b32_e32 v79, v75
	v_add_f32_e32 v80, v98, v113
	v_fmac_f32_e32 v82, -0.5, v123
	v_fmac_f32_e32 v79, 0x3f5db3d7, v77
	v_fmac_f32_e32 v75, 0xbf5db3d7, v77
	v_add_f32_e32 v77, v90, v98
	v_fmac_f32_e32 v90, -0.5, v80
	v_add_f32_e32 v83, v29, v82
	v_sub_f32_e32 v29, v29, v82
	v_sub_f32_e32 v80, v99, v46
	v_mov_b32_e32 v82, v90
	v_fmac_f32_e32 v82, 0xbf5db3d7, v80
	v_fmac_f32_e32 v90, 0x3f5db3d7, v80
	v_add_f32_e32 v80, v91, v99
	v_add_f32_e32 v53, v53, v133
	;; [unrolled: 1-line block ×5, first 2 shown]
	v_sub_f32_e32 v53, v53, v72
	v_add_f32_e32 v72, v92, v100
	v_fmac_f32_e32 v91, -0.5, v46
	v_add_f32_e32 v57, v26, v92
	v_fma_f32 v26, -0.5, v72, v26
	v_sub_f32_e32 v46, v98, v113
	v_mov_b32_e32 v84, v91
	v_sub_f32_e32 v72, v93, v101
	v_mov_b32_e32 v73, v26
	v_fmac_f32_e32 v84, 0x3f5db3d7, v46
	v_fmac_f32_e32 v73, 0xbf5db3d7, v72
	;; [unrolled: 1-line block ×3, first 2 shown]
	v_add_f32_e32 v72, v87, v93
	v_fmac_f32_e32 v91, 0xbf5db3d7, v46
	v_mul_f32_e32 v87, 0xbf5db3d7, v84
	v_mul_f32_e32 v84, 0.5, v84
	v_fmac_f32_e32 v87, 0.5, v82
	v_fmac_f32_e32 v84, 0x3f5db3d7, v82
	v_mul_f32_e32 v82, -0.5, v91
	v_fmac_f32_e32 v82, 0x3f5db3d7, v90
	v_add_f32_e32 v57, v57, v100
	v_add_f32_e32 v72, v72, v101
	;; [unrolled: 1-line block ×4, first 2 shown]
	v_sub_f32_e32 v113, v75, v82
	v_add_f32_e32 v75, v96, v104
	v_add_f32_e32 v98, v72, v80
	v_sub_f32_e32 v101, v72, v80
	v_add_f32_e32 v72, v27, v96
	v_fmac_f32_e32 v27, -0.5, v75
	v_add_f32_e32 v46, v57, v77
	v_add_f32_e32 v99, v79, v84
	v_sub_f32_e32 v57, v57, v77
	v_sub_f32_e32 v112, v79, v84
	;; [unrolled: 1-line block ×3, first 2 shown]
	v_mov_b32_e32 v77, v27
	v_add_f32_e32 v79, v97, v105
	v_fmac_f32_e32 v77, 0xbf5db3d7, v75
	v_fmac_f32_e32 v27, 0x3f5db3d7, v75
	v_add_f32_e32 v75, v88, v97
	v_fmac_f32_e32 v88, -0.5, v79
	v_sub_f32_e32 v79, v96, v104
	v_mov_b32_e32 v80, v88
	v_add_f32_e32 v82, v102, v114
	v_fmac_f32_e32 v80, 0x3f5db3d7, v79
	v_fmac_f32_e32 v88, 0xbf5db3d7, v79
	v_add_f32_e32 v79, v94, v102
	v_fmac_f32_e32 v94, -0.5, v82
	v_sub_f32_e32 v82, v103, v47
	v_mov_b32_e32 v84, v94
	v_fmac_f32_e32 v84, 0xbf5db3d7, v82
	v_fmac_f32_e32 v94, 0x3f5db3d7, v82
	v_add_f32_e32 v82, v95, v103
	v_add_f32_e32 v82, v82, v47
	;; [unrolled: 1-line block ×3, first 2 shown]
	v_fmac_f32_e32 v95, -0.5, v47
	v_add_f32_e32 v89, v73, v87
	v_sub_f32_e32 v73, v73, v87
	v_sub_f32_e32 v47, v102, v114
	v_mov_b32_e32 v87, v95
	v_mul_f32_e32 v92, 0xbf5db3d7, v91
	v_add_f32_e32 v72, v72, v104
	v_add_f32_e32 v79, v79, v114
	v_fmac_f32_e32 v87, 0x3f5db3d7, v47
	v_fmac_f32_e32 v92, -0.5, v90
	v_add_f32_e32 v75, v75, v105
	v_fmac_f32_e32 v95, 0xbf5db3d7, v47
	v_add_f32_e32 v47, v72, v79
	v_mul_f32_e32 v90, 0xbf5db3d7, v87
	v_mul_f32_e32 v87, 0.5, v87
	v_sub_f32_e32 v72, v72, v79
	v_add_f32_e32 v79, v44, v50
	v_add_f32_e32 v93, v26, v92
	v_sub_f32_e32 v26, v26, v92
	v_fmac_f32_e32 v90, 0.5, v84
	v_mul_f32_e32 v92, 0xbf5db3d7, v95
	v_add_f32_e32 v97, v75, v82
	v_fmac_f32_e32 v87, 0x3f5db3d7, v84
	v_mul_f32_e32 v84, -0.5, v95
	v_sub_f32_e32 v95, v75, v82
	v_add_f32_e32 v75, v24, v44
	v_fma_f32 v24, -0.5, v79, v24
	v_add_f32_e32 v102, v80, v87
	v_sub_f32_e32 v103, v80, v87
	v_sub_f32_e32 v79, v36, v32
	v_mov_b32_e32 v80, v24
	v_fmac_f32_e32 v80, 0xbf5db3d7, v79
	v_fmac_f32_e32 v24, 0x3f5db3d7, v79
	v_add_f32_e32 v79, v40, v36
	v_add_f32_e32 v79, v79, v32
	;; [unrolled: 1-line block ×3, first 2 shown]
	v_fma_f32 v32, -0.5, v32, v40
	v_sub_f32_e32 v36, v44, v50
	v_mov_b32_e32 v40, v32
	v_add_f32_e32 v44, v48, v42
	v_fmac_f32_e32 v40, 0x3f5db3d7, v36
	v_fmac_f32_e32 v32, 0xbf5db3d7, v36
	v_add_f32_e32 v36, v115, v48
	v_fmac_f32_e32 v115, -0.5, v44
	v_add_f32_e32 v75, v75, v50
	v_sub_f32_e32 v44, v34, v30
	v_mov_b32_e32 v50, v115
	v_fmac_f32_e32 v50, 0xbf5db3d7, v44
	v_fmac_f32_e32 v115, 0x3f5db3d7, v44
	v_add_f32_e32 v44, v38, v34
	v_add_f32_e32 v44, v44, v30
	;; [unrolled: 1-line block ×3, first 2 shown]
	v_fmac_f32_e32 v38, -0.5, v30
	v_sub_f32_e32 v30, v48, v42
	v_mov_b32_e32 v34, v38
	v_fmac_f32_e32 v34, 0x3f5db3d7, v30
	v_add_f32_e32 v36, v36, v42
	v_fmac_f32_e32 v38, 0xbf5db3d7, v30
	v_mul_f32_e32 v42, 0xbf5db3d7, v34
	v_mul_f32_e32 v34, 0.5, v34
	v_mul_f32_e32 v82, 0xbf5db3d7, v38
	v_fmac_f32_e32 v34, 0x3f5db3d7, v50
	v_mul_f32_e32 v38, -0.5, v38
	v_add_f32_e32 v114, v40, v34
	v_fmac_f32_e32 v38, 0x3f5db3d7, v115
	v_sub_f32_e32 v34, v40, v34
	v_add_f32_e32 v40, v45, v51
	v_fmac_f32_e32 v82, -0.5, v115
	v_add_f32_e32 v115, v32, v38
	v_sub_f32_e32 v32, v32, v38
	v_add_f32_e32 v38, v25, v45
	v_fmac_f32_e32 v25, -0.5, v40
	v_fmac_f32_e32 v42, 0.5, v50
	v_sub_f32_e32 v40, v37, v33
	v_mov_b32_e32 v50, v25
	v_fmac_f32_e32 v50, 0xbf5db3d7, v40
	v_fmac_f32_e32 v25, 0x3f5db3d7, v40
	v_add_f32_e32 v40, v41, v37
	v_add_f32_e32 v40, v40, v33
	;; [unrolled: 1-line block ×3, first 2 shown]
	v_fmac_f32_e32 v41, -0.5, v33
	v_sub_f32_e32 v33, v45, v51
	v_mov_b32_e32 v37, v41
	v_add_f32_e32 v45, v49, v43
	v_fmac_f32_e32 v37, 0x3f5db3d7, v33
	v_fmac_f32_e32 v41, 0xbf5db3d7, v33
	v_add_f32_e32 v33, v56, v49
	v_fmac_f32_e32 v56, -0.5, v45
	v_add_f32_e32 v38, v38, v51
	v_sub_f32_e32 v45, v35, v31
	v_mov_b32_e32 v51, v56
	v_fmac_f32_e32 v51, 0xbf5db3d7, v45
	v_fmac_f32_e32 v56, 0x3f5db3d7, v45
	v_add_f32_e32 v45, v39, v35
	v_add_f32_e32 v45, v45, v31
	;; [unrolled: 1-line block ×3, first 2 shown]
	v_fmac_f32_e32 v39, -0.5, v31
	v_sub_f32_e32 v31, v49, v43
	v_mov_b32_e32 v35, v39
	v_fmac_f32_e32 v35, 0x3f5db3d7, v31
	v_add_f32_e32 v33, v33, v43
	v_mul_f32_e32 v43, 0xbf5db3d7, v35
	v_mul_f32_e32 v35, 0.5, v35
	v_fmac_f32_e32 v39, 0xbf5db3d7, v31
	v_fmac_f32_e32 v35, 0x3f5db3d7, v51
	v_add_f32_e32 v30, v75, v36
	v_sub_f32_e32 v36, v75, v36
	v_mul_f32_e32 v75, 0xbf5db3d7, v39
	v_add_f32_e32 v117, v37, v35
	v_mul_f32_e32 v39, -0.5, v39
	v_sub_f32_e32 v35, v37, v35
	v_mov_b32_e32 v37, 2
	v_fmac_f32_e32 v39, 0x3f5db3d7, v56
	v_lshlrev_b32_sdwa v1, v37, v1 dst_sel:DWORD dst_unused:UNUSED_PAD src0_sel:DWORD src1_sel:BYTE_0
	v_fmac_f32_e32 v75, -0.5, v56
	v_add_f32_e32 v56, v41, v39
	v_sub_f32_e32 v39, v41, v39
	v_add3_u32 v41, 0, v0, v1
	v_mul_u32_u24_e32 v0, 0xf0, v2
	v_lshlrev_b32_sdwa v1, v37, v3 dst_sel:DWORD dst_unused:UNUSED_PAD src0_sel:DWORD src1_sel:BYTE_0
	; wave barrier
	ds_write2_b32 v41, v71, v74 offset1:10
	ds_write2_b32 v41, v76, v52 offset0:20 offset1:30
	ds_write2_b32 v41, v54, v28 offset0:40 offset1:50
	v_add3_u32 v28, 0, v0, v1
	v_mul_u32_u24_e32 v0, 0xf0, v7
	v_lshlrev_b32_sdwa v1, v37, v13 dst_sel:DWORD dst_unused:UNUSED_PAD src0_sel:DWORD src1_sel:BYTE_0
	v_add3_u32 v7, 0, v0, v1
	v_mul_u32_u24_e32 v0, 0xf0, v14
	v_lshlrev_b32_sdwa v1, v37, v15 dst_sel:DWORD dst_unused:UNUSED_PAD src0_sel:DWORD src1_sel:BYTE_0
	v_add3_u32 v13, 0, v0, v1
	v_mul_u32_u24_e32 v0, 0xf0, v16
	v_lshlrev_b32_e32 v1, 2, v17
	v_fmac_f32_e32 v84, 0x3f5db3d7, v94
	v_fmac_f32_e32 v43, 0.5, v51
	v_add3_u32 v14, 0, v0, v1
	v_mul_u32_u24_e32 v0, 0xf0, v18
	v_lshlrev_b32_e32 v1, 2, v19
	v_add_f32_e32 v91, v77, v90
	v_fmac_f32_e32 v92, -0.5, v94
	v_add_f32_e32 v94, v88, v84
	v_sub_f32_e32 v77, v77, v90
	v_sub_f32_e32 v104, v88, v84
	v_add_f32_e32 v48, v80, v42
	v_add_f32_e32 v84, v24, v82
	;; [unrolled: 1-line block ×3, first 2 shown]
	v_sub_f32_e32 v44, v79, v44
	v_add_f32_e32 v31, v38, v33
	v_add_f32_e32 v49, v50, v43
	;; [unrolled: 1-line block ×3, first 2 shown]
	v_sub_f32_e32 v33, v38, v33
	v_sub_f32_e32 v38, v50, v43
	v_add3_u32 v15, 0, v0, v1
	v_add_f32_e32 v96, v27, v92
	v_sub_f32_e32 v27, v27, v92
	v_sub_f32_e32 v42, v80, v42
	v_sub_f32_e32 v24, v24, v82
	v_add_f32_e32 v116, v40, v45
	v_sub_f32_e32 v25, v25, v75
	v_sub_f32_e32 v40, v40, v45
	ds_write2_b32 v28, v78, v81 offset1:10
	ds_write2_b32 v28, v83, v53 offset0:20 offset1:30
	ds_write2_b32 v28, v58, v29 offset0:40 offset1:50
	ds_write2_b32 v7, v46, v89 offset1:10
	ds_write2_b32 v7, v93, v57 offset0:20 offset1:30
	ds_write2_b32 v7, v73, v26 offset0:40 offset1:50
	;; [unrolled: 3-line block ×5, first 2 shown]
	s_waitcnt lgkmcnt(0)
	; wave barrier
	s_waitcnt lgkmcnt(0)
	ds_read2_b32 v[17:18], v64 offset1:60
	ds_read2_b32 v[37:38], v4 offset0:104 offset1:164
	ds_read2_b32 v[48:49], v68 offset0:80 offset1:140
	;; [unrolled: 1-line block ×17, first 2 shown]
	s_waitcnt lgkmcnt(0)
	; wave barrier
	s_waitcnt lgkmcnt(0)
	ds_write2_b32 v41, v85, v59 offset1:10
	ds_write2_b32 v41, v23, v55 offset0:20 offset1:30
	ds_write2_b32 v41, v106, v21 offset0:40 offset1:50
	ds_write2_b32 v28, v107, v108 offset1:10
	ds_write2_b32 v28, v109, v110 offset0:20 offset1:30
	ds_write2_b32 v28, v111, v22 offset0:40 offset1:50
	;; [unrolled: 3-line block ×6, first 2 shown]
	v_mul_u32_u24_e32 v7, 5, v86
	v_lshlrev_b32_e32 v40, 3, v7
	s_waitcnt lgkmcnt(0)
	; wave barrier
	s_waitcnt lgkmcnt(0)
	global_load_dwordx4 v[13:16], v40, s[12:13] offset:400
	global_load_dwordx4 v[21:24], v40, s[12:13] offset:416
	s_movk_i32 s4, 0x89
	v_mul_lo_u16_sdwa v7, v6, s4 dst_sel:DWORD dst_unused:UNUSED_PAD src0_sel:BYTE_0 src1_sel:DWORD
	v_lshrrev_b16_e32 v7, 13, v7
	v_mul_lo_u16_e32 v7, 60, v7
	v_sub_u16_e32 v6, v6, v7
	v_and_b32_e32 v6, 0xff, v6
	v_mul_u32_u24_e32 v7, 5, v6
	v_lshlrev_b32_e32 v19, 3, v7
	global_load_dwordx4 v[25:28], v19, s[12:13] offset:400
	v_mul_lo_u16_sdwa v7, v12, s4 dst_sel:DWORD dst_unused:UNUSED_PAD src0_sel:BYTE_0 src1_sel:DWORD
	v_lshrrev_b16_e32 v7, 13, v7
	v_mul_lo_u16_e32 v7, 60, v7
	v_sub_u16_e32 v7, v12, v7
	v_and_b32_e32 v7, 0xff, v7
	v_mul_u32_u24_e32 v12, 5, v7
	v_lshlrev_b32_e32 v12, 3, v12
	global_load_dwordx4 v[29:32], v12, s[12:13] offset:400
	global_load_dwordx2 v[93:94], v40, s[12:13] offset:432
	global_load_dwordx4 v[33:36], v12, s[12:13] offset:416
	ds_read2_b32 v[95:96], v64 offset1:60
	ds_read2_b32 v[45:46], v4 offset0:104 offset1:164
	ds_read2_b32 v[54:55], v68 offset0:80 offset1:140
	;; [unrolled: 1-line block ×9, first 2 shown]
	s_mov_b32 s4, 0x8889
	global_load_dwordx2 v[111:112], v19, s[12:13] offset:432
	global_load_dwordx4 v[41:44], v19, s[12:13] offset:416
	v_lshl_add_u32 v6, v6, 2, 0
	s_waitcnt vmcnt(7) lgkmcnt(8)
	v_mul_f32_e32 v39, v45, v14
	v_fmac_f32_e32 v39, v37, v13
	v_mul_f32_e32 v37, v37, v14
	v_mul_f32_e32 v118, v46, v14
	;; [unrolled: 1-line block ×3, first 2 shown]
	v_fma_f32 v19, v45, v13, -v37
	v_fmac_f32_e32 v118, v38, v13
	v_fma_f32 v119, v46, v13, -v14
	v_mul_u32_u24_sdwa v13, v5, s4 dst_sel:DWORD dst_unused:UNUSED_PAD src0_sel:WORD_0 src1_sel:DWORD
	v_lshrrev_b32_e32 v13, 21, v13
	v_mul_f32_e32 v37, v48, v16
	v_mul_lo_u16_e32 v13, 60, v13
	s_waitcnt lgkmcnt(7)
	v_fma_f32 v85, v54, v15, -v37
	s_waitcnt vmcnt(6)
	v_mul_f32_e32 v37, v50, v22
	v_sub_u16_e32 v5, v5, v13
	s_waitcnt lgkmcnt(6)
	v_mul_f32_e32 v115, v97, v22
	v_fma_f32 v97, v97, v21, -v37
	global_load_dwordx2 v[37:38], v12, s[12:13] offset:432
	v_mul_u32_u24_e32 v12, 5, v5
	v_mul_f32_e32 v59, v54, v16
	v_mul_f32_e32 v120, v55, v16
	v_lshlrev_b32_e32 v12, 3, v12
	v_mul_f32_e32 v13, v49, v16
	v_fmac_f32_e32 v59, v48, v15
	global_load_dwordx4 v[45:48], v12, s[12:13] offset:400
	v_fmac_f32_e32 v120, v49, v15
	v_fma_f32 v121, v55, v15, -v13
	global_load_dwordx2 v[113:114], v12, s[12:13] offset:432
	global_load_dwordx4 v[13:16], v12, s[12:13] offset:416
	v_mul_u32_u24_sdwa v12, v65, s4 dst_sel:DWORD dst_unused:UNUSED_PAD src0_sel:WORD_0 src1_sel:DWORD
	v_lshrrev_b32_e32 v12, 21, v12
	v_mul_lo_u16_e32 v12, 60, v12
	v_mul_f32_e32 v122, v98, v22
	v_mul_f32_e32 v22, v51, v22
	v_sub_u16_e32 v12, v65, v12
	v_fmac_f32_e32 v115, v50, v21
	v_fmac_f32_e32 v122, v51, v21
	v_fma_f32 v98, v98, v21, -v22
	v_mul_u32_u24_e32 v21, 5, v12
	s_waitcnt lgkmcnt(5)
	v_mul_f32_e32 v116, v99, v24
	v_mul_f32_e32 v123, v100, v24
	v_lshlrev_b32_e32 v124, 3, v21
	v_fmac_f32_e32 v116, v52, v23
	v_mul_f32_e32 v117, v52, v24
	v_fmac_f32_e32 v123, v53, v23
	v_mul_f32_e32 v24, v53, v24
	global_load_dwordx4 v[49:52], v124, s[12:13] offset:416
	global_load_dwordx4 v[53:56], v124, s[12:13] offset:400
	v_fma_f32 v99, v99, v23, -v117
	s_waitcnt vmcnt(11) lgkmcnt(2)
	v_mul_f32_e32 v117, v105, v26
	v_mul_f32_e32 v26, v71, v26
	v_fmac_f32_e32 v117, v71, v25
	v_fma_f32 v105, v105, v25, -v26
	s_waitcnt lgkmcnt(1)
	v_mul_f32_e32 v125, v107, v28
	v_mul_f32_e32 v25, v73, v28
	v_fmac_f32_e32 v125, v73, v27
	v_fma_f32 v73, v107, v27, -v25
	global_load_dwordx2 v[27:28], v124, s[12:13] offset:432
	ds_read2_b32 v[21:22], v69 offset0:24 offset1:84
	s_waitcnt vmcnt(11)
	v_mul_f32_e32 v124, v108, v32
	v_mul_f32_e32 v32, v74, v32
	v_fma_f32 v100, v100, v23, -v24
	ds_read2_b32 v[23:24], v66 offset0:128 offset1:188
	v_fmac_f32_e32 v124, v74, v31
	v_fma_f32 v74, v108, v31, -v32
	s_waitcnt vmcnt(10)
	v_mul_f32_e32 v108, v101, v94
	v_fmac_f32_e32 v108, v57, v93
	v_mul_f32_e32 v57, v57, v94
	v_fma_f32 v57, v101, v93, -v57
	v_mul_f32_e32 v101, v102, v94
	v_fmac_f32_e32 v101, v58, v93
	v_mul_f32_e32 v58, v58, v94
	v_mul_f32_e32 v107, v106, v30
	;; [unrolled: 1-line block ×3, first 2 shown]
	v_fma_f32 v58, v102, v93, -v58
	s_waitcnt vmcnt(7) lgkmcnt(2)
	v_mul_f32_e32 v93, v109, v42
	v_mul_f32_e32 v42, v75, v42
	s_waitcnt lgkmcnt(1)
	v_mul_f32_e32 v94, v21, v44
	ds_read2_b32 v[25:26], v63 offset0:112 offset1:172
	v_fmac_f32_e32 v107, v72, v29
	v_fma_f32 v106, v106, v29, -v30
	ds_read2_b32 v[29:30], v61 offset0:88 offset1:148
	ds_read2_b32 v[31:32], v67 offset0:192 offset1:252
	;; [unrolled: 1-line block ×3, first 2 shown]
	v_fmac_f32_e32 v93, v75, v41
	v_fma_f32 v75, v109, v41, -v42
	v_fmac_f32_e32 v94, v77, v43
	v_mul_f32_e32 v41, v77, v44
	s_waitcnt lgkmcnt(4)
	v_mul_f32_e32 v77, v23, v112
	v_fma_f32 v21, v21, v43, -v41
	ds_read2_b32 v[41:42], v69 offset0:144 offset1:204
	v_fmac_f32_e32 v77, v79, v111
	v_mul_f32_e32 v43, v79, v112
	v_mul_f32_e32 v79, v110, v34
	;; [unrolled: 1-line block ×3, first 2 shown]
	v_fmac_f32_e32 v79, v76, v33
	v_fma_f32 v33, v110, v33, -v34
	v_mul_f32_e32 v34, v22, v36
	v_mul_f32_e32 v36, v78, v36
	v_fma_f32 v23, v23, v111, -v43
	ds_read2_b32 v[43:44], v70 offset0:120 offset1:180
	v_fmac_f32_e32 v34, v78, v35
	v_fma_f32 v22, v22, v35, -v36
	s_waitcnt vmcnt(6)
	v_mul_f32_e32 v35, v24, v38
	v_mul_f32_e32 v36, v80, v38
	v_fmac_f32_e32 v35, v80, v37
	v_fma_f32 v24, v24, v37, -v36
	s_waitcnt vmcnt(5)
	v_mul_f32_e32 v37, v81, v46
	v_mul_f32_e32 v38, v83, v48
	s_waitcnt lgkmcnt(4)
	v_mul_f32_e32 v36, v29, v46
	v_fma_f32 v29, v29, v45, -v37
	s_waitcnt lgkmcnt(3)
	v_mul_f32_e32 v37, v31, v48
	v_fma_f32 v31, v31, v47, -v38
	s_waitcnt vmcnt(3) lgkmcnt(2)
	v_mul_f32_e32 v38, v71, v14
	v_mul_f32_e32 v14, v87, v14
	v_fmac_f32_e32 v38, v87, v13
	v_fma_f32 v13, v71, v13, -v14
	s_waitcnt lgkmcnt(1)
	v_mul_f32_e32 v14, v41, v16
	v_mul_f32_e32 v16, v89, v16
	v_fmac_f32_e32 v36, v81, v45
	v_fmac_f32_e32 v14, v89, v15
	v_fma_f32 v15, v41, v15, -v16
	v_mul_f32_e32 v41, v91, v114
	v_fmac_f32_e32 v37, v83, v47
	s_waitcnt lgkmcnt(0)
	v_mul_f32_e32 v16, v43, v114
	v_fma_f32 v41, v43, v113, -v41
	v_fmac_f32_e32 v16, v91, v113
	s_waitcnt vmcnt(2)
	v_mul_f32_e32 v47, v88, v50
	s_waitcnt vmcnt(1)
	v_mul_f32_e32 v45, v82, v54
	v_mul_f32_e32 v46, v84, v56
	;; [unrolled: 1-line block ×3, first 2 shown]
	v_fma_f32 v30, v30, v53, -v45
	v_mul_f32_e32 v45, v32, v56
	v_fma_f32 v32, v32, v55, -v46
	v_mul_f32_e32 v46, v72, v50
	v_fmac_f32_e32 v46, v88, v49
	v_fma_f32 v47, v72, v49, -v47
	v_mul_f32_e32 v48, v42, v52
	v_mul_f32_e32 v49, v90, v52
	v_fmac_f32_e32 v48, v90, v51
	v_fma_f32 v42, v42, v51, -v49
	v_add_f32_e32 v51, v85, v99
	v_fma_f32 v51, -0.5, v51, v95
	v_fmac_f32_e32 v43, v82, v53
	v_sub_f32_e32 v52, v59, v116
	v_mov_b32_e32 v53, v51
	v_add_f32_e32 v54, v115, v108
	v_fmac_f32_e32 v53, 0x3f5db3d7, v52
	v_fmac_f32_e32 v51, 0xbf5db3d7, v52
	v_add_f32_e32 v52, v39, v115
	v_fmac_f32_e32 v39, -0.5, v54
	v_fmac_f32_e32 v45, v84, v55
	s_waitcnt vmcnt(0)
	v_mul_f32_e32 v49, v44, v28
	v_mul_f32_e32 v28, v92, v28
	v_sub_f32_e32 v54, v97, v57
	v_mov_b32_e32 v55, v39
	v_add_f32_e32 v56, v97, v57
	v_fmac_f32_e32 v49, v92, v27
	v_fma_f32 v27, v44, v27, -v28
	v_add_f32_e32 v44, v59, v116
	v_fmac_f32_e32 v55, 0xbf5db3d7, v54
	v_fmac_f32_e32 v39, 0x3f5db3d7, v54
	v_add_f32_e32 v54, v19, v97
	v_fmac_f32_e32 v19, -0.5, v56
	v_add_f32_e32 v28, v17, v59
	v_fma_f32 v17, -0.5, v44, v17
	v_add_f32_e32 v54, v54, v57
	v_sub_f32_e32 v56, v115, v108
	v_mov_b32_e32 v57, v19
	v_sub_f32_e32 v44, v85, v99
	v_mov_b32_e32 v50, v17
	v_fmac_f32_e32 v57, 0x3f5db3d7, v56
	v_fmac_f32_e32 v50, 0xbf5db3d7, v44
	v_fmac_f32_e32 v17, 0x3f5db3d7, v44
	v_add_f32_e32 v44, v95, v85
	v_fmac_f32_e32 v19, 0xbf5db3d7, v56
	v_mul_f32_e32 v59, 0xbf5db3d7, v57
	v_add_f32_e32 v44, v44, v99
	v_fmac_f32_e32 v59, 0.5, v55
	v_mul_f32_e32 v72, 0xbf5db3d7, v19
	v_mul_f32_e32 v19, -0.5, v19
	v_add_f32_e32 v71, v50, v59
	v_fmac_f32_e32 v72, -0.5, v39
	v_add_f32_e32 v78, v44, v54
	v_fmac_f32_e32 v19, 0x3f5db3d7, v39
	v_sub_f32_e32 v50, v50, v59
	v_sub_f32_e32 v59, v44, v54
	v_add_f32_e32 v44, v120, v123
	v_add_f32_e32 v28, v28, v116
	;; [unrolled: 1-line block ×5, first 2 shown]
	v_sub_f32_e32 v17, v17, v72
	v_sub_f32_e32 v72, v51, v19
	v_add_f32_e32 v19, v18, v120
	v_fmac_f32_e32 v18, -0.5, v44
	v_add_f32_e32 v56, v28, v52
	v_mul_f32_e32 v57, 0.5, v57
	v_sub_f32_e32 v28, v28, v52
	v_sub_f32_e32 v44, v121, v100
	v_mov_b32_e32 v51, v18
	v_add_f32_e32 v52, v121, v100
	v_fmac_f32_e32 v57, 0x3f5db3d7, v55
	v_fmac_f32_e32 v51, 0xbf5db3d7, v44
	;; [unrolled: 1-line block ×3, first 2 shown]
	v_add_f32_e32 v44, v96, v121
	v_fmac_f32_e32 v96, -0.5, v52
	v_add_f32_e32 v80, v53, v57
	v_sub_f32_e32 v57, v53, v57
	v_sub_f32_e32 v52, v120, v123
	v_mov_b32_e32 v53, v96
	v_add_f32_e32 v54, v122, v101
	v_fmac_f32_e32 v53, 0x3f5db3d7, v52
	v_fmac_f32_e32 v96, 0xbf5db3d7, v52
	v_add_f32_e32 v52, v118, v122
	v_fmac_f32_e32 v118, -0.5, v54
	v_sub_f32_e32 v54, v98, v58
	v_mov_b32_e32 v55, v118
	v_fmac_f32_e32 v55, 0xbf5db3d7, v54
	v_fmac_f32_e32 v118, 0x3f5db3d7, v54
	v_add_f32_e32 v54, v119, v98
	v_add_f32_e32 v54, v54, v58
	;; [unrolled: 1-line block ×3, first 2 shown]
	v_fmac_f32_e32 v119, -0.5, v58
	v_sub_f32_e32 v58, v122, v101
	v_mov_b32_e32 v81, v119
	v_fmac_f32_e32 v81, 0x3f5db3d7, v58
	v_add_f32_e32 v19, v19, v123
	v_add_f32_e32 v52, v52, v101
	v_mul_f32_e32 v82, 0xbf5db3d7, v81
	v_add_f32_e32 v44, v44, v100
	v_fmac_f32_e32 v119, 0xbf5db3d7, v58
	v_add_f32_e32 v58, v19, v52
	v_fmac_f32_e32 v82, 0.5, v55
	v_mul_f32_e32 v81, 0.5, v81
	v_sub_f32_e32 v19, v19, v52
	v_add_f32_e32 v52, v125, v94
	v_add_f32_e32 v83, v51, v82
	;; [unrolled: 1-line block ×3, first 2 shown]
	v_fmac_f32_e32 v81, 0x3f5db3d7, v55
	v_sub_f32_e32 v51, v51, v82
	v_sub_f32_e32 v82, v44, v54
	v_add_f32_e32 v44, v2, v125
	v_fma_f32 v2, -0.5, v52, v2
	v_add_f32_e32 v88, v53, v81
	v_sub_f32_e32 v81, v53, v81
	v_sub_f32_e32 v52, v73, v21
	v_mov_b32_e32 v53, v2
	v_fmac_f32_e32 v53, 0xbf5db3d7, v52
	v_fmac_f32_e32 v2, 0x3f5db3d7, v52
	v_add_f32_e32 v52, v103, v73
	v_mul_f32_e32 v84, 0xbf5db3d7, v119
	v_mul_f32_e32 v55, -0.5, v119
	v_add_f32_e32 v52, v52, v21
	v_add_f32_e32 v21, v73, v21
	v_fmac_f32_e32 v84, -0.5, v118
	v_fmac_f32_e32 v55, 0x3f5db3d7, v118
	v_fma_f32 v21, -0.5, v21, v103
	v_add_f32_e32 v85, v18, v84
	v_add_f32_e32 v89, v96, v55
	v_sub_f32_e32 v18, v18, v84
	v_sub_f32_e32 v84, v96, v55
	;; [unrolled: 1-line block ×3, first 2 shown]
	v_mov_b32_e32 v55, v21
	v_add_f32_e32 v73, v93, v77
	v_fmac_f32_e32 v55, 0x3f5db3d7, v54
	v_fmac_f32_e32 v21, 0xbf5db3d7, v54
	v_add_f32_e32 v54, v117, v93
	v_fmac_f32_e32 v117, -0.5, v73
	v_sub_f32_e32 v73, v75, v23
	v_mov_b32_e32 v90, v117
	v_fmac_f32_e32 v90, 0xbf5db3d7, v73
	v_fmac_f32_e32 v117, 0x3f5db3d7, v73
	v_add_f32_e32 v73, v105, v75
	v_add_f32_e32 v73, v73, v23
	v_add_f32_e32 v23, v75, v23
	v_fmac_f32_e32 v105, -0.5, v23
	v_sub_f32_e32 v23, v93, v77
	v_mov_b32_e32 v75, v105
	v_add_f32_e32 v44, v44, v94
	v_add_f32_e32 v54, v54, v77
	v_fmac_f32_e32 v75, 0x3f5db3d7, v23
	v_fmac_f32_e32 v105, 0xbf5db3d7, v23
	v_add_f32_e32 v23, v44, v54
	v_mul_f32_e32 v77, 0xbf5db3d7, v75
	v_mul_f32_e32 v75, 0.5, v75
	v_sub_f32_e32 v44, v44, v54
	v_add_f32_e32 v54, v124, v34
	v_add_f32_e32 v94, v52, v73
	v_fmac_f32_e32 v75, 0x3f5db3d7, v90
	v_sub_f32_e32 v73, v52, v73
	v_add_f32_e32 v52, v3, v124
	v_fmac_f32_e32 v3, -0.5, v54
	v_fmac_f32_e32 v77, 0.5, v90
	v_add_f32_e32 v90, v55, v75
	v_sub_f32_e32 v75, v55, v75
	v_sub_f32_e32 v54, v74, v22
	v_mov_b32_e32 v55, v3
	v_fmac_f32_e32 v55, 0xbf5db3d7, v54
	v_fmac_f32_e32 v3, 0x3f5db3d7, v54
	v_add_f32_e32 v54, v104, v74
	v_add_f32_e32 v54, v54, v22
	v_add_f32_e32 v22, v74, v22
	v_fmac_f32_e32 v104, -0.5, v22
	v_add_f32_e32 v52, v52, v34
	v_sub_f32_e32 v22, v124, v34
	v_mov_b32_e32 v34, v104
	v_add_f32_e32 v74, v79, v35
	v_fmac_f32_e32 v34, 0x3f5db3d7, v22
	v_fmac_f32_e32 v104, 0xbf5db3d7, v22
	v_add_f32_e32 v22, v107, v79
	v_fmac_f32_e32 v107, -0.5, v74
	v_add_f32_e32 v91, v53, v77
	v_sub_f32_e32 v53, v53, v77
	v_sub_f32_e32 v74, v33, v24
	v_mov_b32_e32 v77, v107
	v_fmac_f32_e32 v77, 0xbf5db3d7, v74
	v_fmac_f32_e32 v107, 0x3f5db3d7, v74
	v_add_f32_e32 v74, v106, v33
	v_add_f32_e32 v74, v74, v24
	v_add_f32_e32 v24, v33, v24
	v_fmac_f32_e32 v106, -0.5, v24
	v_mul_f32_e32 v92, 0xbf5db3d7, v105
	v_sub_f32_e32 v24, v79, v35
	v_mov_b32_e32 v33, v106
	v_fmac_f32_e32 v92, -0.5, v117
	v_fmac_f32_e32 v33, 0x3f5db3d7, v24
	v_fmac_f32_e32 v106, 0xbf5db3d7, v24
	v_add_f32_e32 v93, v2, v92
	v_mul_f32_e32 v95, -0.5, v105
	v_sub_f32_e32 v2, v2, v92
	v_add_f32_e32 v22, v22, v35
	v_mul_f32_e32 v35, 0xbf5db3d7, v33
	v_mul_f32_e32 v92, 0xbf5db3d7, v106
	v_mul_f32_e32 v33, 0.5, v33
	v_fmac_f32_e32 v95, 0x3f5db3d7, v117
	v_fmac_f32_e32 v92, -0.5, v107
	v_fmac_f32_e32 v33, 0x3f5db3d7, v77
	v_add_f32_e32 v96, v21, v95
	v_sub_f32_e32 v21, v21, v95
	v_fmac_f32_e32 v35, 0.5, v77
	v_add_f32_e32 v95, v3, v92
	v_add_f32_e32 v77, v34, v33
	v_sub_f32_e32 v3, v3, v92
	v_sub_f32_e32 v92, v34, v33
	v_add_f32_e32 v34, v37, v14
	v_add_f32_e32 v33, v0, v37
	v_fma_f32 v0, -0.5, v34, v0
	v_add_f32_e32 v24, v52, v22
	v_sub_f32_e32 v22, v52, v22
	v_sub_f32_e32 v34, v31, v15
	v_mov_b32_e32 v52, v0
	v_fmac_f32_e32 v52, 0xbf5db3d7, v34
	v_fmac_f32_e32 v0, 0x3f5db3d7, v34
	v_add_f32_e32 v34, v25, v31
	v_add_f32_e32 v34, v34, v15
	;; [unrolled: 1-line block ×3, first 2 shown]
	v_fma_f32 v15, -0.5, v15, v25
	v_add_f32_e32 v33, v33, v14
	v_sub_f32_e32 v14, v37, v14
	v_mov_b32_e32 v25, v15
	v_add_f32_e32 v31, v38, v16
	v_fmac_f32_e32 v25, 0x3f5db3d7, v14
	v_fmac_f32_e32 v15, 0xbf5db3d7, v14
	v_add_f32_e32 v14, v36, v38
	v_fmac_f32_e32 v36, -0.5, v31
	v_sub_f32_e32 v31, v13, v41
	v_mov_b32_e32 v37, v36
	v_fmac_f32_e32 v37, 0xbf5db3d7, v31
	v_fmac_f32_e32 v36, 0x3f5db3d7, v31
	v_add_f32_e32 v31, v29, v13
	v_add_f32_e32 v13, v13, v41
	v_fmac_f32_e32 v29, -0.5, v13
	v_add_f32_e32 v14, v14, v16
	v_sub_f32_e32 v13, v38, v16
	v_mov_b32_e32 v16, v29
	v_fmac_f32_e32 v16, 0x3f5db3d7, v13
	v_fmac_f32_e32 v29, 0xbf5db3d7, v13
	v_mul_f32_e32 v38, 0xbf5db3d7, v16
	v_mul_f32_e32 v16, 0.5, v16
	v_add_f32_e32 v97, v54, v74
	v_mul_f32_e32 v98, -0.5, v106
	v_sub_f32_e32 v74, v54, v74
	v_mul_f32_e32 v54, 0xbf5db3d7, v29
	v_fmac_f32_e32 v16, 0x3f5db3d7, v37
	v_mul_f32_e32 v29, -0.5, v29
	v_fmac_f32_e32 v98, 0x3f5db3d7, v107
	v_add_f32_e32 v101, v25, v16
	v_fmac_f32_e32 v29, 0x3f5db3d7, v36
	v_sub_f32_e32 v103, v25, v16
	v_add_f32_e32 v16, v45, v48
	v_add_f32_e32 v99, v104, v98
	v_sub_f32_e32 v98, v104, v98
	v_add_f32_e32 v102, v15, v29
	v_sub_f32_e32 v104, v15, v29
	v_add_f32_e32 v15, v1, v45
	v_fmac_f32_e32 v1, -0.5, v16
	v_sub_f32_e32 v16, v32, v42
	v_mov_b32_e32 v25, v1
	v_add_f32_e32 v29, v32, v42
	v_add_f32_e32 v31, v31, v41
	v_fmac_f32_e32 v38, 0.5, v37
	v_fmac_f32_e32 v25, 0xbf5db3d7, v16
	v_fmac_f32_e32 v1, 0x3f5db3d7, v16
	v_add_f32_e32 v16, v26, v32
	v_fmac_f32_e32 v26, -0.5, v29
	v_add_f32_e32 v13, v33, v14
	v_add_f32_e32 v41, v52, v38
	;; [unrolled: 1-line block ×3, first 2 shown]
	v_sub_f32_e32 v14, v33, v14
	v_sub_f32_e32 v33, v52, v38
	;; [unrolled: 1-line block ×4, first 2 shown]
	v_mov_b32_e32 v31, v26
	v_add_f32_e32 v32, v46, v49
	v_fmac_f32_e32 v31, 0x3f5db3d7, v29
	v_fmac_f32_e32 v26, 0xbf5db3d7, v29
	v_add_f32_e32 v29, v43, v46
	v_fmac_f32_e32 v43, -0.5, v32
	v_sub_f32_e32 v32, v47, v27
	v_mov_b32_e32 v34, v43
	v_fmac_f32_e32 v34, 0xbf5db3d7, v32
	v_fmac_f32_e32 v43, 0x3f5db3d7, v32
	v_add_f32_e32 v32, v30, v47
	v_add_f32_e32 v32, v32, v27
	;; [unrolled: 1-line block ×3, first 2 shown]
	s_waitcnt lgkmcnt(0)
	; wave barrier
	ds_write2_b32 v64, v56, v71 offset1:60
	ds_write2_b32 v64, v76, v28 offset0:120 offset1:180
	ds_write2_b32 v63, v50, v17 offset0:112 offset1:172
	;; [unrolled: 1-line block ×5, first 2 shown]
	v_add_u32_e32 v56, 0xa00, v6
	v_add_u32_e32 v6, 0xc00, v6
	v_fmac_f32_e32 v30, -0.5, v27
	ds_write2_b32 v56, v23, v91 offset0:80 offset1:140
	ds_write2_b32 v6, v93, v44 offset0:72 offset1:132
	;; [unrolled: 1-line block ×3, first 2 shown]
	v_lshl_add_u32 v2, v7, 2, 0
	v_add_f32_e32 v79, v55, v35
	v_sub_f32_e32 v35, v55, v35
	v_fmac_f32_e32 v54, -0.5, v36
	v_sub_f32_e32 v27, v46, v49
	v_mov_b32_e32 v36, v30
	v_add_u32_e32 v7, 0x1000, v2
	v_add_u32_e32 v2, 0x1400, v2
	v_fmac_f32_e32 v36, 0x3f5db3d7, v27
	v_fmac_f32_e32 v30, 0xbf5db3d7, v27
	ds_write2_b32 v7, v24, v79 offset0:56 offset1:116
	ds_write2_b32 v7, v95, v22 offset0:176 offset1:236
	;; [unrolled: 1-line block ×3, first 2 shown]
	v_lshl_add_u32 v3, v5, 2, 0
	v_add_f32_e32 v55, v0, v54
	v_sub_f32_e32 v0, v0, v54
	v_mul_f32_e32 v37, 0xbf5db3d7, v36
	v_mul_f32_e32 v45, 0xbf5db3d7, v30
	v_add_u32_e32 v5, 0x1400, v3
	v_add_u32_e32 v3, 0x1800, v3
	v_add_f32_e32 v15, v15, v48
	v_add_f32_e32 v29, v29, v49
	v_fmac_f32_e32 v37, 0.5, v34
	v_fmac_f32_e32 v45, -0.5, v43
	v_mul_f32_e32 v36, 0.5, v36
	v_mul_f32_e32 v30, -0.5, v30
	ds_write2_b32 v5, v13, v41 offset0:160 offset1:220
	ds_write2_b32 v3, v55, v14 offset0:24 offset1:84
	;; [unrolled: 1-line block ×3, first 2 shown]
	v_lshl_add_u32 v0, v12, 2, 0
	v_add_f32_e32 v16, v16, v42
	v_add_f32_e32 v27, v15, v29
	;; [unrolled: 1-line block ×4, first 2 shown]
	v_fmac_f32_e32 v36, 0x3f5db3d7, v34
	v_fmac_f32_e32 v30, 0x3f5db3d7, v43
	v_sub_f32_e32 v15, v15, v29
	v_sub_f32_e32 v25, v25, v37
	;; [unrolled: 1-line block ×3, first 2 shown]
	v_add_u32_e32 v41, 0x1c00, v0
	v_add_u32_e32 v0, 0x1e00, v0
	v_add_f32_e32 v105, v16, v32
	v_add_f32_e32 v106, v31, v36
	v_add_f32_e32 v43, v26, v30
	v_sub_f32_e32 v107, v16, v32
	v_sub_f32_e32 v108, v31, v36
	;; [unrolled: 1-line block ×3, first 2 shown]
	ds_write2_b32 v41, v27, v42 offset0:8 offset1:68
	ds_write2_b32 v41, v46, v15 offset0:128 offset1:188
	;; [unrolled: 1-line block ×3, first 2 shown]
	s_waitcnt lgkmcnt(0)
	; wave barrier
	s_waitcnt lgkmcnt(0)
	ds_read2_b32 v[12:13], v64 offset1:60
	ds_read2_b32 v[14:15], v4 offset0:104 offset1:164
	ds_read2_b32 v[24:25], v68 offset0:80 offset1:140
	;; [unrolled: 1-line block ×17, first 2 shown]
	s_waitcnt lgkmcnt(0)
	; wave barrier
	s_waitcnt lgkmcnt(0)
	ds_write2_b32 v64, v78, v80 offset1:60
	ds_write2_b32 v64, v39, v59 offset0:120 offset1:180
	ds_write2_b32 v63, v57, v72 offset0:112 offset1:172
	;; [unrolled: 1-line block ×17, first 2 shown]
	s_waitcnt lgkmcnt(0)
	; wave barrier
	s_waitcnt lgkmcnt(0)
	s_and_saveexec_b64 s[4:5], s[0:1]
	s_cbranch_execz .LBB0_21
; %bb.20:
	v_mul_u32_u24_e32 v0, 5, v65
	v_lshlrev_b32_e32 v20, 3, v0
	global_load_dwordx4 v[0:3], v20, s[12:13] offset:2800
	global_load_dwordx4 v[4:7], v20, s[12:13] offset:2816
	global_load_dwordx2 v[38:39], v20, s[12:13] offset:2832
	v_mul_lo_u32 v41, s3, v10
	v_mad_u64_u32 v[20:21], s[0:1], s2, v10, 0
	v_add_u32_e32 v10, 0x200, v64
	v_add_u32_e32 v58, 0x800, v64
	;; [unrolled: 1-line block ×3, first 2 shown]
	v_mov_b32_e32 v71, 0xfffffed4
	v_mul_lo_u32 v70, s2, v11
	v_add_u32_e32 v68, 0xc00, v64
	v_add_u32_e32 v69, 0x1800, v64
	;; [unrolled: 1-line block ×3, first 2 shown]
	v_mov_b32_e32 v11, 0
	ds_read2_b32 v[56:57], v10 offset0:112 offset1:172
	ds_read2_b32 v[82:83], v68 offset0:192 offset1:252
	;; [unrolled: 1-line block ×6, first 2 shown]
	v_mad_u32_u24 v10, v65, 5, v71
	v_mov_b32_e32 v67, s13
	v_add_co_u32_e32 v42, vcc, s12, v40
	v_lshlrev_b64 v[71:72], 3, v[10:11]
	v_addc_co_u32_e32 v43, vcc, 0, v67, vcc
	v_add_co_u32_e32 v40, vcc, s12, v71
	v_add3_u32 v21, v21, v70, v41
	v_addc_co_u32_e32 v41, vcc, v67, v72, vcc
	global_load_dwordx2 v[89:90], v[42:43], off offset:2832
	global_load_dwordx2 v[91:92], v[40:41], off offset:2832
	global_load_dwordx4 v[70:73], v[40:41], off offset:2816
	global_load_dwordx4 v[74:77], v[40:41], off offset:2800
	v_add_u32_e32 v111, 0x1c00, v64
	s_mov_b32 s0, 0x16c16c17
	v_lshlrev_b64 v[8:9], 3, v[8:9]
	s_movk_i32 s1, 0x1000
	s_waitcnt vmcnt(6)
	v_mul_f32_e32 v10, v53, v3
	s_waitcnt lgkmcnt(4)
	v_mul_f32_e32 v41, v83, v3
	s_waitcnt vmcnt(5) lgkmcnt(1)
	v_mul_f32_e32 v79, v5, v63
	v_mul_f32_e32 v3, v49, v5
	s_waitcnt vmcnt(4)
	v_mul_f32_e32 v5, v51, v39
	v_mul_f32_e32 v78, v1, v59
	s_waitcnt lgkmcnt(0)
	v_mul_f32_e32 v80, v39, v61
	v_mul_f32_e32 v1, v45, v1
	v_fma_f32 v10, v2, v83, -v10
	v_fmac_f32_e32 v41, v53, v2
	v_fma_f32 v2, v4, v63, -v3
	v_fma_f32 v3, v38, v61, -v5
	v_mul_f32_e32 v40, v55, v7
	v_mul_f32_e32 v7, v88, v7
	v_fmac_f32_e32 v78, v45, v0
	v_fmac_f32_e32 v79, v49, v4
	;; [unrolled: 1-line block ×3, first 2 shown]
	v_fma_f32 v0, v0, v59, -v1
	v_add_f32_e32 v38, v2, v3
	v_fma_f32 v39, v6, v88, -v40
	v_fmac_f32_e32 v7, v55, v6
	v_add_f32_e32 v5, v79, v80
	v_sub_f32_e32 v6, v2, v3
	v_add_f32_e32 v2, v0, v2
	v_fma_f32 v38, -0.5, v38, v0
	v_add_f32_e32 v1, v10, v39
	v_sub_f32_e32 v40, v79, v80
	v_fma_f32 v53, -0.5, v5, v78
	v_add_f32_e32 v55, v2, v3
	v_mov_b32_e32 v2, v38
	v_add_f32_e32 v45, v57, v10
	v_fma_f32 v51, -0.5, v1, v57
	v_mov_b32_e32 v0, v53
	v_fmac_f32_e32 v38, 0x3f5db3d7, v40
	v_fmac_f32_e32 v2, 0xbf5db3d7, v40
	v_sub_f32_e32 v4, v41, v7
	v_add_f32_e32 v49, v41, v7
	v_sub_f32_e32 v10, v10, v39
	v_add_f32_e32 v45, v45, v39
	v_mov_b32_e32 v39, v51
	v_fmac_f32_e32 v53, 0xbf5db3d7, v6
	v_fmac_f32_e32 v0, 0x3f5db3d7, v6
	v_mul_f32_e32 v6, 0.5, v38
	v_mul_f32_e32 v40, -0.5, v2
	v_fma_f32 v49, -0.5, v49, v47
	v_fmac_f32_e32 v51, 0x3f5db3d7, v4
	v_fmac_f32_e32 v39, 0xbf5db3d7, v4
	v_fmac_f32_e32 v6, 0x3f5db3d7, v53
	v_fmac_f32_e32 v40, 0x3f5db3d7, v0
	v_add_f32_e32 v4, v47, v41
	v_sub_f32_e32 v3, v51, v6
	v_sub_f32_e32 v1, v39, v40
	v_mov_b32_e32 v57, v49
	v_add_f32_e32 v47, v4, v7
	v_add_f32_e32 v7, v39, v40
	v_add_f32_e32 v39, v51, v6
	v_mov_b32_e32 v6, 0xfffffda8
	v_fmac_f32_e32 v57, 0x3f5db3d7, v10
	v_fmac_f32_e32 v49, 0xbf5db3d7, v10
	v_mad_u32_u24 v10, v65, 5, v6
	v_add_f32_e32 v4, v78, v79
	v_lshlrev_b64 v[78:79], 3, v[10:11]
	v_mul_f32_e32 v38, 0xbf5db3d7, v38
	v_add_co_u32_e32 v93, vcc, s12, v78
	v_addc_co_u32_e32 v94, vcc, v67, v79, vcc
	v_fmac_f32_e32 v38, 0.5, v53
	v_add_f32_e32 v53, v4, v80
	global_load_dwordx4 v[78:81], v[93:94], off offset:2800
	s_waitcnt vmcnt(1)
	v_mul_f32_e32 v10, v52, v77
	v_mul_f32_e32 v59, 0xbf5db3d7, v2
	v_sub_f32_e32 v2, v49, v38
	v_add_f32_e32 v38, v49, v38
	v_fma_f32 v10, v76, v82, -v10
	v_mul_f32_e32 v49, v82, v77
	global_load_dwordx2 v[95:96], v[93:94], off offset:2832
	global_load_dwordx4 v[82:85], v[93:94], off offset:2816
	v_sub_f32_e32 v5, v45, v55
	v_fmac_f32_e32 v59, -0.5, v0
	v_add_f32_e32 v41, v45, v55
	v_mul_f32_e32 v45, v54, v73
	v_sub_f32_e32 v0, v57, v59
	v_sub_f32_e32 v4, v47, v53
	v_add_f32_e32 v6, v57, v59
	v_add_f32_e32 v40, v47, v53
	v_fma_f32 v47, v72, v87, -v45
	v_mul_f32_e32 v57, v71, v62
	v_mul_f32_e32 v59, v92, v60
	v_add_f32_e32 v45, v10, v47
	v_mul_f32_e32 v55, v75, v58
	v_fmac_f32_e32 v57, v48, v70
	v_fmac_f32_e32 v59, v50, v91
	v_fma_f32 v51, -0.5, v45, v56
	v_fmac_f32_e32 v55, v44, v74
	v_add_f32_e32 v45, v57, v59
	v_fma_f32 v61, -0.5, v45, v55
	v_mul_f32_e32 v45, v48, v71
	v_fma_f32 v62, v70, v62, -v45
	v_mul_f32_e32 v45, v50, v92
	v_fma_f32 v50, v91, v60, -v45
	v_mul_f32_e32 v44, v44, v75
	v_fmac_f32_e32 v49, v52, v76
	v_mul_f32_e32 v52, v87, v73
	v_fma_f32 v44, v74, v58, -v44
	v_add_f32_e32 v45, v62, v50
	v_fmac_f32_e32 v52, v54, v72
	v_fma_f32 v58, -0.5, v45, v44
	v_add_f32_e32 v44, v44, v62
	v_sub_f32_e32 v48, v62, v50
	v_sub_f32_e32 v63, v57, v59
	v_mov_b32_e32 v70, v58
	v_add_f32_e32 v62, v44, v50
	v_add_f32_e32 v44, v49, v52
	v_fmac_f32_e32 v70, 0xbf5db3d7, v63
	v_fmac_f32_e32 v58, 0x3f5db3d7, v63
	v_fma_f32 v63, -0.5, v44, v46
	v_sub_f32_e32 v53, v49, v52
	v_mov_b32_e32 v54, v51
	v_mov_b32_e32 v60, v61
	v_add_f32_e32 v56, v56, v10
	v_sub_f32_e32 v10, v10, v47
	v_mov_b32_e32 v72, v63
	v_fmac_f32_e32 v54, 0xbf5db3d7, v53
	v_fmac_f32_e32 v60, 0x3f5db3d7, v48
	v_mul_f32_e32 v71, -0.5, v70
	v_fmac_f32_e32 v51, 0x3f5db3d7, v53
	v_fmac_f32_e32 v61, 0xbf5db3d7, v48
	v_mul_f32_e32 v53, 0.5, v58
	v_fmac_f32_e32 v72, 0x3f5db3d7, v10
	v_fmac_f32_e32 v63, 0xbf5db3d7, v10
	v_mul_f32_e32 v10, 0xbf5db3d7, v58
	v_fmac_f32_e32 v71, 0x3f5db3d7, v60
	v_fmac_f32_e32 v53, 0x3f5db3d7, v61
	v_fmac_f32_e32 v10, 0.5, v61
	v_add_f32_e32 v46, v46, v49
	v_sub_f32_e32 v45, v54, v71
	v_sub_f32_e32 v48, v51, v53
	v_add_f32_e32 v56, v56, v47
	v_sub_f32_e32 v47, v63, v10
	v_add_f32_e32 v46, v46, v52
	v_add_f32_e32 v52, v54, v71
	v_add_f32_e32 v54, v51, v53
	v_add_f32_e32 v53, v63, v10
	v_mov_b32_e32 v10, 0xfffffc7c
	v_mad_u32_u24 v10, v65, 5, v10
	v_add_f32_e32 v49, v55, v57
	v_lshlrev_b64 v[57:58], 3, v[10:11]
	v_mul_f32_e32 v70, 0xbf5db3d7, v70
	v_add_co_u32_e32 v57, vcc, s12, v57
	v_fmac_f32_e32 v70, -0.5, v60
	v_addc_co_u32_e32 v58, vcc, v67, v58, vcc
	v_sub_f32_e32 v44, v72, v70
	v_add_f32_e32 v51, v72, v70
	ds_read2_b32 v[87:88], v64 offset0:120 offset1:180
	ds_read2_b32 v[91:92], v68 offset0:72 offset1:132
	;; [unrolled: 1-line block ×3, first 2 shown]
	global_load_dwordx4 v[68:71], v[57:58], off offset:2816
	global_load_dwordx4 v[72:75], v[57:58], off offset:2800
	global_load_dwordx2 v[101:102], v[57:58], off offset:2832
	v_add_f32_e32 v55, v49, v59
	v_sub_f32_e32 v49, v46, v55
	v_add_f32_e32 v55, v46, v55
	s_waitcnt vmcnt(5)
	v_mul_f32_e32 v46, v35, v81
	s_waitcnt lgkmcnt(1)
	v_fma_f32 v10, v80, v92, -v46
	s_waitcnt vmcnt(3)
	v_mul_f32_e32 v46, v37, v85
	s_waitcnt lgkmcnt(0)
	v_fma_f32 v46, v84, v94, -v46
	v_mul_f32_e32 v61, v92, v81
	v_add_f32_e32 v59, v10, v46
	v_fmac_f32_e32 v61, v35, v80
	v_mul_f32_e32 v35, v94, v85
	v_add_u32_e32 v92, 0x1000, v64
	v_fma_f32 v63, -0.5, v59, v88
	v_add_u32_e32 v59, 0x600, v64
	v_fmac_f32_e32 v35, v37, v84
	ds_read2_b32 v[84:85], v92 offset0:176 offset1:236
	ds_read2_b32 v[99:100], v111 offset0:128 offset1:188
	;; [unrolled: 1-line block ×3, first 2 shown]
	v_sub_f32_e32 v37, v61, v35
	v_mov_b32_e32 v76, v63
	s_waitcnt lgkmcnt(2)
	v_mul_f32_e32 v80, v83, v85
	s_waitcnt lgkmcnt(1)
	v_mul_f32_e32 v81, v96, v100
	;; [unrolled: 2-line block ×3, first 2 shown]
	v_fmac_f32_e32 v80, v31, v82
	v_fmac_f32_e32 v81, v33, v95
	v_mul_f32_e32 v31, v31, v83
	v_mul_f32_e32 v33, v33, v96
	v_fmac_f32_e32 v77, v29, v78
	v_fma_f32 v31, v82, v85, -v31
	v_fma_f32 v33, v95, v100, -v33
	v_mul_f32_e32 v29, v29, v79
	v_add_f32_e32 v59, v80, v81
	v_fma_f32 v29, v78, v98, -v29
	v_add_f32_e32 v58, v31, v33
	v_fma_f32 v59, -0.5, v59, v77
	v_sub_f32_e32 v57, v31, v33
	v_fma_f32 v78, -0.5, v58, v29
	v_add_f32_e32 v29, v29, v31
	v_add_f32_e32 v31, v61, v35
	v_mov_b32_e32 v82, v59
	v_sub_f32_e32 v60, v80, v81
	v_fma_f32 v31, -0.5, v31, v27
	v_fmac_f32_e32 v82, 0x3f5db3d7, v57
	v_mov_b32_e32 v79, v78
	v_fmac_f32_e32 v59, 0xbf5db3d7, v57
	v_fmac_f32_e32 v78, 0x3f5db3d7, v60
	v_add_f32_e32 v57, v88, v10
	v_add_f32_e32 v29, v29, v33
	v_sub_f32_e32 v10, v10, v46
	v_mov_b32_e32 v33, v31
	v_fmac_f32_e32 v33, 0x3f5db3d7, v10
	v_fmac_f32_e32 v31, 0xbf5db3d7, v10
	v_mul_f32_e32 v10, 0xbf5db3d7, v78
	v_fmac_f32_e32 v76, 0xbf5db3d7, v37
	v_fmac_f32_e32 v79, 0xbf5db3d7, v60
	;; [unrolled: 1-line block ×3, first 2 shown]
	v_mul_f32_e32 v37, 0.5, v78
	v_fmac_f32_e32 v10, 0.5, v59
	v_mul_f32_e32 v83, -0.5, v79
	v_fmac_f32_e32 v37, 0x3f5db3d7, v59
	v_sub_f32_e32 v59, v31, v10
	v_add_f32_e32 v103, v31, v10
	v_mov_b32_e32 v10, 0xfffffb50
	v_fmac_f32_e32 v83, 0x3f5db3d7, v82
	v_add_f32_e32 v27, v27, v61
	v_mad_u32_u24 v10, v65, 5, v10
	v_sub_f32_e32 v58, v76, v83
	v_add_f32_e32 v27, v27, v35
	v_add_f32_e32 v35, v77, v80
	;; [unrolled: 1-line block ×3, first 2 shown]
	v_lshlrev_b64 v[76:77], 3, v[10:11]
	v_add_f32_e32 v85, v57, v46
	v_add_co_u32_e32 v107, vcc, s12, v76
	v_mul_f32_e32 v46, 0xbf5db3d7, v79
	v_addc_co_u32_e32 v108, vcc, v67, v77, vcc
	v_fmac_f32_e32 v46, -0.5, v82
	v_add_f32_e32 v35, v35, v81
	global_load_dwordx4 v[76:79], v[107:108], off offset:2800
	global_load_dwordx2 v[109:110], v[107:108], off offset:2832
	global_load_dwordx4 v[80:83], v[107:108], off offset:2816
	v_sub_f32_e32 v61, v27, v35
	v_add_f32_e32 v105, v27, v35
	s_waitcnt vmcnt(4)
	v_mul_f32_e32 v27, v34, v75
	v_fma_f32 v10, v74, v91, -v27
	v_mul_f32_e32 v27, v36, v71
	v_mul_f32_e32 v65, v69, v84
	s_waitcnt vmcnt(3)
	v_mul_f32_e32 v67, v102, v99
	v_sub_f32_e32 v60, v63, v37
	v_add_f32_e32 v104, v63, v37
	v_fma_f32 v27, v70, v93, -v27
	v_mul_f32_e32 v63, v73, v97
	v_fmac_f32_e32 v65, v30, v68
	v_fmac_f32_e32 v67, v32, v101
	v_mul_f32_e32 v30, v30, v69
	v_mul_f32_e32 v32, v32, v102
	v_sub_f32_e32 v50, v56, v62
	v_add_f32_e32 v56, v56, v62
	v_sub_f32_e32 v62, v85, v29
	v_sub_f32_e32 v57, v33, v46
	v_add_f32_e32 v106, v85, v29
	v_add_f32_e32 v94, v33, v46
	;; [unrolled: 1-line block ×3, first 2 shown]
	v_mul_f32_e32 v31, v91, v75
	v_mul_f32_e32 v33, v93, v71
	v_fmac_f32_e32 v63, v28, v72
	v_add_f32_e32 v35, v65, v67
	v_fma_f32 v30, v68, v84, -v30
	v_fma_f32 v32, v101, v99, -v32
	v_mul_f32_e32 v28, v28, v73
	v_fma_f32 v29, -0.5, v29, v87
	v_fmac_f32_e32 v31, v34, v74
	v_fmac_f32_e32 v33, v36, v70
	v_fma_f32 v36, -0.5, v35, v63
	v_fma_f32 v28, v72, v97, -v28
	v_add_f32_e32 v35, v30, v32
	v_sub_f32_e32 v34, v31, v33
	v_mov_b32_e32 v46, v29
	v_sub_f32_e32 v37, v30, v32
	v_fma_f32 v70, -0.5, v35, v28
	v_add_f32_e32 v28, v28, v30
	v_add_f32_e32 v30, v31, v33
	v_fmac_f32_e32 v46, 0xbf5db3d7, v34
	v_sub_f32_e32 v68, v65, v67
	v_fmac_f32_e32 v29, 0x3f5db3d7, v34
	v_add_f32_e32 v34, v87, v10
	v_fma_f32 v30, -0.5, v30, v26
	v_mov_b32_e32 v71, v70
	v_fmac_f32_e32 v70, 0x3f5db3d7, v68
	v_add_f32_e32 v74, v34, v27
	v_sub_f32_e32 v10, v10, v27
	v_mov_b32_e32 v27, v30
	v_mov_b32_e32 v69, v36
	v_fmac_f32_e32 v71, 0xbf5db3d7, v68
	v_fmac_f32_e32 v36, 0xbf5db3d7, v37
	;; [unrolled: 1-line block ×4, first 2 shown]
	v_mul_f32_e32 v10, 0xbf5db3d7, v70
	v_fmac_f32_e32 v69, 0x3f5db3d7, v37
	v_mul_f32_e32 v72, -0.5, v71
	v_mul_f32_e32 v73, 0.5, v70
	v_add_f32_e32 v28, v28, v32
	v_mul_f32_e32 v32, 0xbf5db3d7, v71
	v_fmac_f32_e32 v10, 0.5, v36
	v_add_f32_e32 v26, v26, v31
	v_fmac_f32_e32 v72, 0x3f5db3d7, v69
	v_fmac_f32_e32 v73, 0x3f5db3d7, v36
	v_fmac_f32_e32 v32, -0.5, v69
	v_sub_f32_e32 v36, v30, v10
	v_add_f32_e32 v75, v26, v33
	v_add_f32_e32 v26, v63, v65
	;; [unrolled: 1-line block ×3, first 2 shown]
	v_add_u32_e32 v10, 0xa00, v64
	v_sub_f32_e32 v35, v46, v72
	v_sub_f32_e32 v37, v29, v73
	;; [unrolled: 1-line block ×4, first 2 shown]
	v_add_f32_e32 v63, v26, v67
	v_add_f32_e32 v70, v46, v72
	;; [unrolled: 1-line block ×5, first 2 shown]
	ds_read2_b32 v[84:85], v10 offset0:80 offset1:140
	global_load_dwordx4 v[26:29], v[42:43], off offset:2816
	global_load_dwordx4 v[30:33], v[42:43], off offset:2800
	ds_read2_b32 v[42:43], v66 offset0:160 offset1:220
	ds_read2_b32 v[65:66], v64 offset1:60
	s_waitcnt vmcnt(4)
	v_mul_f32_e32 v10, v25, v79
	s_waitcnt vmcnt(2)
	v_mul_f32_e32 v46, v23, v83
	s_waitcnt lgkmcnt(2)
	v_fma_f32 v10, v78, v85, -v10
	v_mul_f32_e32 v85, v85, v79
	s_waitcnt lgkmcnt(1)
	v_fma_f32 v46, v82, v43, -v46
	v_fmac_f32_e32 v85, v25, v78
	v_mul_f32_e32 v25, v43, v83
	v_sub_f32_e32 v67, v75, v63
	v_add_f32_e32 v73, v75, v63
	v_add_f32_e32 v63, v10, v46
	v_fmac_f32_e32 v25, v23, v82
	v_add_u32_e32 v43, 0x400, v64
	ds_read2_b32 v[78:79], v92 offset0:56 offset1:116
	ds_read2_b32 v[82:83], v111 offset0:8 offset1:68
	s_waitcnt lgkmcnt(2)
	v_fma_f32 v91, -0.5, v63, v66
	ds_read2_b32 v[63:64], v43 offset0:104 offset1:164
	v_sub_f32_e32 v23, v85, v25
	s_waitcnt lgkmcnt(2)
	v_mul_f32_e32 v92, v81, v79
	s_waitcnt lgkmcnt(1)
	v_mul_f32_e32 v93, v110, v83
	v_fmac_f32_e32 v92, v17, v80
	s_waitcnt lgkmcnt(0)
	v_mul_f32_e32 v87, v77, v64
	v_fmac_f32_e32 v93, v19, v109
	v_mul_f32_e32 v17, v17, v81
	v_mul_f32_e32 v19, v19, v110
	v_fmac_f32_e32 v87, v15, v76
	v_fma_f32 v17, v80, v79, -v17
	v_fma_f32 v19, v109, v83, -v19
	v_mul_f32_e32 v15, v15, v77
	v_add_f32_e32 v75, v92, v93
	v_fma_f32 v15, v76, v64, -v15
	v_add_f32_e32 v64, v17, v19
	v_fma_f32 v96, -0.5, v75, v87
	v_sub_f32_e32 v75, v17, v19
	v_fma_f32 v64, -0.5, v64, v15
	v_add_f32_e32 v15, v15, v17
	v_add_f32_e32 v17, v85, v25
	v_sub_f32_e32 v77, v92, v93
	v_fma_f32 v17, -0.5, v17, v13
	v_add_f32_e32 v13, v13, v85
	v_mov_b32_e32 v43, v91
	v_mov_b32_e32 v81, v64
	v_fmac_f32_e32 v64, 0x3f5db3d7, v77
	v_add_f32_e32 v66, v66, v10
	v_add_f32_e32 v15, v15, v19
	v_sub_f32_e32 v10, v10, v46
	v_mov_b32_e32 v19, v17
	v_add_f32_e32 v13, v13, v25
	v_add_f32_e32 v25, v87, v92
	v_fmac_f32_e32 v43, 0xbf5db3d7, v23
	v_mov_b32_e32 v79, v96
	v_fmac_f32_e32 v81, 0xbf5db3d7, v77
	v_fmac_f32_e32 v91, 0x3f5db3d7, v23
	;; [unrolled: 1-line block ×3, first 2 shown]
	v_mul_f32_e32 v23, 0.5, v64
	v_fmac_f32_e32 v19, 0x3f5db3d7, v10
	v_fmac_f32_e32 v17, 0xbf5db3d7, v10
	v_mul_f32_e32 v10, 0xbf5db3d7, v64
	v_add_f32_e32 v25, v25, v93
	v_fmac_f32_e32 v79, 0x3f5db3d7, v75
	v_mul_f32_e32 v83, -0.5, v81
	v_fmac_f32_e32 v23, 0x3f5db3d7, v96
	v_add_f32_e32 v66, v66, v46
	v_mul_f32_e32 v46, 0xbf5db3d7, v81
	v_fmac_f32_e32 v10, 0.5, v96
	v_sub_f32_e32 v87, v13, v25
	v_add_f32_e32 v98, v13, v25
	v_fmac_f32_e32 v83, 0x3f5db3d7, v79
	v_sub_f32_e32 v80, v91, v23
	v_fmac_f32_e32 v46, -0.5, v79
	v_sub_f32_e32 v79, v17, v10
	v_add_f32_e32 v97, v91, v23
	v_add_f32_e32 v96, v17, v10
	v_sub_f32_e32 v88, v66, v15
	v_add_f32_e32 v99, v66, v15
	v_sub_f32_e32 v75, v19, v46
	;; [unrolled: 2-line block ×3, first 2 shown]
	s_waitcnt vmcnt(1)
	v_mul_f32_e32 v25, v27, v78
	s_waitcnt vmcnt(0)
	v_mul_f32_e32 v10, v24, v33
	v_mul_f32_e32 v13, v22, v29
	;; [unrolled: 1-line block ×4, first 2 shown]
	v_fmac_f32_e32 v25, v16, v26
	v_mul_f32_e32 v16, v16, v27
	v_fma_f32 v10, v32, v84, -v10
	v_fma_f32 v13, v28, v42, -v13
	v_fmac_f32_e32 v17, v24, v32
	v_fmac_f32_e32 v23, v22, v28
	v_mul_f32_e32 v24, v31, v63
	v_mul_f32_e32 v28, v90, v82
	v_fma_f32 v26, v26, v78, -v16
	v_mul_f32_e32 v16, v18, v90
	v_add_f32_e32 v15, v10, v13
	v_fmac_f32_e32 v24, v14, v30
	v_fmac_f32_e32 v28, v18, v89
	v_fma_f32 v18, v89, v82, -v16
	v_mul_f32_e32 v14, v14, v31
	v_fma_f32 v19, -0.5, v15, v65
	v_fma_f32 v30, v30, v63, -v14
	v_add_f32_e32 v14, v26, v18
	v_sub_f32_e32 v15, v17, v23
	v_mov_b32_e32 v22, v19
	v_add_f32_e32 v29, v25, v28
	v_fma_f32 v31, -0.5, v14, v30
	v_sub_f32_e32 v32, v25, v28
	v_fmac_f32_e32 v22, 0xbf5db3d7, v15
	v_fma_f32 v29, -0.5, v29, v24
	v_sub_f32_e32 v16, v26, v18
	v_mov_b32_e32 v33, v31
	v_fmac_f32_e32 v19, 0x3f5db3d7, v15
	v_fmac_f32_e32 v31, 0x3f5db3d7, v32
	v_add_f32_e32 v15, v65, v10
	v_add_f32_e32 v92, v43, v83
	v_mov_b32_e32 v27, v29
	v_fmac_f32_e32 v33, 0xbf5db3d7, v32
	v_fmac_f32_e32 v29, 0xbf5db3d7, v16
	v_mul_f32_e32 v32, 0.5, v31
	v_add_f32_e32 v43, v15, v13
	v_add_f32_e32 v15, v30, v26
	v_fmac_f32_e32 v32, 0x3f5db3d7, v29
	v_add_f32_e32 v26, v15, v18
	v_add_f32_e32 v15, v17, v23
	v_fmac_f32_e32 v27, 0x3f5db3d7, v16
	v_sub_f32_e32 v16, v19, v32
	v_fma_f32 v30, -0.5, v15, v12
	v_add_f32_e32 v12, v12, v17
	v_add_f32_e32 v17, v24, v25
	;; [unrolled: 1-line block ×3, first 2 shown]
	v_lshrrev_b32_e32 v19, 3, v86
	v_mul_hi_u32 v19, v19, s0
	v_sub_f32_e32 v10, v10, v13
	v_mov_b32_e32 v46, v30
	v_fmac_f32_e32 v46, 0x3f5db3d7, v10
	v_fmac_f32_e32 v30, 0xbf5db3d7, v10
	v_mul_f32_e32 v10, 0xbf5db3d7, v31
	v_fmac_f32_e32 v10, 0.5, v29
	v_sub_f32_e32 v15, v30, v10
	v_add_f32_e32 v24, v30, v10
	v_lshrrev_b32_e32 v10, 2, v19
	v_lshlrev_b64 v[19:20], 3, v[20:21]
	v_mul_f32_e32 v42, -0.5, v33
	v_mul_f32_e32 v33, 0xbf5db3d7, v33
	v_add_f32_e32 v12, v12, v23
	v_add_f32_e32 v28, v17, v28
	v_fmac_f32_e32 v42, 0x3f5db3d7, v27
	v_sub_f32_e32 v18, v43, v26
	v_fmac_f32_e32 v33, -0.5, v27
	v_sub_f32_e32 v17, v12, v28
	v_add_f32_e32 v27, v43, v26
	v_add_f32_e32 v26, v12, v28
	v_mov_b32_e32 v12, s11
	v_add_co_u32_e32 v19, vcc, s10, v19
	v_mul_u32_u24_e32 v10, 0x168, v10
	v_addc_co_u32_e32 v12, vcc, v12, v20, vcc
	v_sub_u32_e32 v10, v86, v10
	v_add_co_u32_e32 v21, vcc, v19, v8
	v_addc_co_u32_e32 v12, vcc, v12, v9, vcc
	v_lshlrev_b32_e32 v8, 3, v10
	v_add_co_u32_e32 v8, vcc, v21, v8
	v_addc_co_u32_e32 v9, vcc, 0, v12, vcc
	v_add_co_u32_e32 v19, vcc, s1, v8
	v_sub_f32_e32 v14, v22, v42
	v_add_f32_e32 v23, v22, v42
	v_add_f32_e32 v22, v46, v33
	v_addc_co_u32_e32 v20, vcc, 0, v9, vcc
	s_movk_i32 s1, 0x2000
	global_store_dwordx2 v[8:9], v[26:27], off
	global_store_dwordx2 v[8:9], v[24:25], off offset:2880
	global_store_dwordx2 v[19:20], v[22:23], off offset:1664
	v_add_co_u32_e32 v19, vcc, s1, v8
	v_addc_co_u32_e32 v20, vcc, 0, v9, vcc
	v_add_u32_e32 v10, 60, v86
	global_store_dwordx2 v[19:20], v[17:18], off offset:448
	global_store_dwordx2 v[19:20], v[15:16], off offset:3328
	v_lshrrev_b32_e32 v15, 3, v10
	v_mul_hi_u32 v15, v15, s0
	s_movk_i32 s1, 0x3000
	v_add_co_u32_e32 v8, vcc, s1, v8
	v_sub_f32_e32 v13, v46, v33
	v_addc_co_u32_e32 v9, vcc, 0, v9, vcc
	global_store_dwordx2 v[8:9], v[13:14], off offset:2112
	v_lshrrev_b32_e32 v8, 2, v15
	v_mul_u32_u24_e32 v9, 0x168, v8
	v_sub_u32_e32 v9, v10, v9
	s_movk_i32 s1, 0x870
	v_mad_u32_u24 v10, v8, s1, v9
	v_lshlrev_b64 v[8:9], 3, v[10:11]
	v_add_co_u32_e32 v8, vcc, v21, v8
	v_addc_co_u32_e32 v9, vcc, v12, v9, vcc
	global_store_dwordx2 v[8:9], v[98:99], off
	v_add_u32_e32 v8, 0x168, v10
	v_mov_b32_e32 v9, v11
	v_lshlrev_b64 v[8:9], 3, v[8:9]
	v_add_co_u32_e32 v8, vcc, v21, v8
	v_addc_co_u32_e32 v9, vcc, v12, v9, vcc
	global_store_dwordx2 v[8:9], v[96:97], off
	v_add_u32_e32 v8, 0x2d0, v10
	v_mov_b32_e32 v9, v11
	v_lshlrev_b64 v[8:9], 3, v[8:9]
	v_add_co_u32_e32 v8, vcc, v21, v8
	v_addc_co_u32_e32 v9, vcc, v12, v9, vcc
	global_store_dwordx2 v[8:9], v[91:92], off
	v_add_u32_e32 v8, 0x438, v10
	v_mov_b32_e32 v9, v11
	v_lshlrev_b64 v[8:9], 3, v[8:9]
	v_add_co_u32_e32 v8, vcc, v21, v8
	v_addc_co_u32_e32 v9, vcc, v12, v9, vcc
	global_store_dwordx2 v[8:9], v[87:88], off
	v_add_u32_e32 v8, 0x5a0, v10
	v_mov_b32_e32 v9, v11
	v_lshlrev_b64 v[8:9], 3, v[8:9]
	v_add_u32_e32 v10, 0x708, v10
	v_add_co_u32_e32 v8, vcc, v21, v8
	v_addc_co_u32_e32 v9, vcc, v12, v9, vcc
	global_store_dwordx2 v[8:9], v[79:80], off
	v_lshlrev_b64 v[8:9], 3, v[10:11]
	v_add_u32_e32 v10, 0x78, v86
	v_lshrrev_b32_e32 v13, 3, v10
	v_mul_hi_u32 v13, v13, s0
	v_add_co_u32_e32 v8, vcc, v21, v8
	v_addc_co_u32_e32 v9, vcc, v12, v9, vcc
	global_store_dwordx2 v[8:9], v[75:76], off
	v_lshrrev_b32_e32 v8, 2, v13
	v_mul_u32_u24_e32 v9, 0x168, v8
	v_sub_u32_e32 v9, v10, v9
	v_mad_u32_u24 v10, v8, s1, v9
	v_lshlrev_b64 v[8:9], 3, v[10:11]
	v_add_co_u32_e32 v8, vcc, v21, v8
	v_addc_co_u32_e32 v9, vcc, v12, v9, vcc
	global_store_dwordx2 v[8:9], v[73:74], off
	v_add_u32_e32 v8, 0x168, v10
	v_mov_b32_e32 v9, v11
	v_lshlrev_b64 v[8:9], 3, v[8:9]
	v_add_co_u32_e32 v8, vcc, v21, v8
	v_addc_co_u32_e32 v9, vcc, v12, v9, vcc
	global_store_dwordx2 v[8:9], v[71:72], off
	v_add_u32_e32 v8, 0x2d0, v10
	v_mov_b32_e32 v9, v11
	v_lshlrev_b64 v[8:9], 3, v[8:9]
	v_add_co_u32_e32 v8, vcc, v21, v8
	v_addc_co_u32_e32 v9, vcc, v12, v9, vcc
	global_store_dwordx2 v[8:9], v[69:70], off
	v_add_u32_e32 v8, 0x438, v10
	v_mov_b32_e32 v9, v11
	v_lshlrev_b64 v[8:9], 3, v[8:9]
	v_add_co_u32_e32 v8, vcc, v21, v8
	v_addc_co_u32_e32 v9, vcc, v12, v9, vcc
	global_store_dwordx2 v[8:9], v[67:68], off
	v_add_u32_e32 v8, 0x5a0, v10
	v_mov_b32_e32 v9, v11
	v_lshlrev_b64 v[8:9], 3, v[8:9]
	v_add_u32_e32 v10, 0x708, v10
	v_add_co_u32_e32 v8, vcc, v21, v8
	v_addc_co_u32_e32 v9, vcc, v12, v9, vcc
	global_store_dwordx2 v[8:9], v[36:37], off
	v_lshlrev_b64 v[8:9], 3, v[10:11]
	v_add_u32_e32 v10, 0xb4, v86
	v_lshrrev_b32_e32 v13, 3, v10
	v_mul_hi_u32 v13, v13, s0
	v_add_co_u32_e32 v8, vcc, v21, v8
	v_addc_co_u32_e32 v9, vcc, v12, v9, vcc
	global_store_dwordx2 v[8:9], v[34:35], off
	v_lshrrev_b32_e32 v8, 2, v13
	v_mul_u32_u24_e32 v9, 0x168, v8
	v_sub_u32_e32 v9, v10, v9
	;; [unrolled: 40-line block ×4, first 2 shown]
	v_mad_u32_u24 v10, v8, s1, v9
	v_lshlrev_b64 v[8:9], 3, v[10:11]
	v_add_co_u32_e32 v8, vcc, v21, v8
	v_addc_co_u32_e32 v9, vcc, v12, v9, vcc
	global_store_dwordx2 v[8:9], v[40:41], off
	v_add_u32_e32 v8, 0x168, v10
	v_mov_b32_e32 v9, v11
	v_lshlrev_b64 v[8:9], 3, v[8:9]
	v_add_co_u32_e32 v8, vcc, v21, v8
	v_addc_co_u32_e32 v9, vcc, v12, v9, vcc
	global_store_dwordx2 v[8:9], v[38:39], off
	v_add_u32_e32 v8, 0x2d0, v10
	v_mov_b32_e32 v9, v11
	;; [unrolled: 6-line block ×4, first 2 shown]
	v_lshlrev_b64 v[4:5], 3, v[4:5]
	v_add_u32_e32 v10, 0x708, v10
	v_add_co_u32_e32 v4, vcc, v21, v4
	v_addc_co_u32_e32 v5, vcc, v12, v5, vcc
	global_store_dwordx2 v[4:5], v[2:3], off
	v_lshlrev_b64 v[2:3], 3, v[10:11]
	v_add_co_u32_e32 v2, vcc, v21, v2
	v_addc_co_u32_e32 v3, vcc, v12, v3, vcc
	global_store_dwordx2 v[2:3], v[0:1], off
.LBB0_21:
	s_endpgm
	.section	.rodata,"a",@progbits
	.p2align	6, 0x0
	.amdhsa_kernel fft_rtc_back_len2160_factors_10_6_6_6_wgs_60_tpt_60_halfLds_sp_op_CI_CI_unitstride_sbrr_dirReg
		.amdhsa_group_segment_fixed_size 0
		.amdhsa_private_segment_fixed_size 0
		.amdhsa_kernarg_size 104
		.amdhsa_user_sgpr_count 6
		.amdhsa_user_sgpr_private_segment_buffer 1
		.amdhsa_user_sgpr_dispatch_ptr 0
		.amdhsa_user_sgpr_queue_ptr 0
		.amdhsa_user_sgpr_kernarg_segment_ptr 1
		.amdhsa_user_sgpr_dispatch_id 0
		.amdhsa_user_sgpr_flat_scratch_init 0
		.amdhsa_user_sgpr_private_segment_size 0
		.amdhsa_uses_dynamic_stack 0
		.amdhsa_system_sgpr_private_segment_wavefront_offset 0
		.amdhsa_system_sgpr_workgroup_id_x 1
		.amdhsa_system_sgpr_workgroup_id_y 0
		.amdhsa_system_sgpr_workgroup_id_z 0
		.amdhsa_system_sgpr_workgroup_info 0
		.amdhsa_system_vgpr_workitem_id 0
		.amdhsa_next_free_vgpr 134
		.amdhsa_next_free_sgpr 28
		.amdhsa_reserve_vcc 1
		.amdhsa_reserve_flat_scratch 0
		.amdhsa_float_round_mode_32 0
		.amdhsa_float_round_mode_16_64 0
		.amdhsa_float_denorm_mode_32 3
		.amdhsa_float_denorm_mode_16_64 3
		.amdhsa_dx10_clamp 1
		.amdhsa_ieee_mode 1
		.amdhsa_fp16_overflow 0
		.amdhsa_exception_fp_ieee_invalid_op 0
		.amdhsa_exception_fp_denorm_src 0
		.amdhsa_exception_fp_ieee_div_zero 0
		.amdhsa_exception_fp_ieee_overflow 0
		.amdhsa_exception_fp_ieee_underflow 0
		.amdhsa_exception_fp_ieee_inexact 0
		.amdhsa_exception_int_div_zero 0
	.end_amdhsa_kernel
	.text
.Lfunc_end0:
	.size	fft_rtc_back_len2160_factors_10_6_6_6_wgs_60_tpt_60_halfLds_sp_op_CI_CI_unitstride_sbrr_dirReg, .Lfunc_end0-fft_rtc_back_len2160_factors_10_6_6_6_wgs_60_tpt_60_halfLds_sp_op_CI_CI_unitstride_sbrr_dirReg
                                        ; -- End function
	.section	.AMDGPU.csdata,"",@progbits
; Kernel info:
; codeLenInByte = 16824
; NumSgprs: 32
; NumVgprs: 134
; ScratchSize: 0
; MemoryBound: 0
; FloatMode: 240
; IeeeMode: 1
; LDSByteSize: 0 bytes/workgroup (compile time only)
; SGPRBlocks: 3
; VGPRBlocks: 33
; NumSGPRsForWavesPerEU: 32
; NumVGPRsForWavesPerEU: 134
; Occupancy: 1
; WaveLimiterHint : 1
; COMPUTE_PGM_RSRC2:SCRATCH_EN: 0
; COMPUTE_PGM_RSRC2:USER_SGPR: 6
; COMPUTE_PGM_RSRC2:TRAP_HANDLER: 0
; COMPUTE_PGM_RSRC2:TGID_X_EN: 1
; COMPUTE_PGM_RSRC2:TGID_Y_EN: 0
; COMPUTE_PGM_RSRC2:TGID_Z_EN: 0
; COMPUTE_PGM_RSRC2:TIDIG_COMP_CNT: 0
	.type	__hip_cuid_6fda7827385a58e2,@object ; @__hip_cuid_6fda7827385a58e2
	.section	.bss,"aw",@nobits
	.globl	__hip_cuid_6fda7827385a58e2
__hip_cuid_6fda7827385a58e2:
	.byte	0                               ; 0x0
	.size	__hip_cuid_6fda7827385a58e2, 1

	.ident	"AMD clang version 19.0.0git (https://github.com/RadeonOpenCompute/llvm-project roc-6.4.0 25133 c7fe45cf4b819c5991fe208aaa96edf142730f1d)"
	.section	".note.GNU-stack","",@progbits
	.addrsig
	.addrsig_sym __hip_cuid_6fda7827385a58e2
	.amdgpu_metadata
---
amdhsa.kernels:
  - .args:
      - .actual_access:  read_only
        .address_space:  global
        .offset:         0
        .size:           8
        .value_kind:     global_buffer
      - .offset:         8
        .size:           8
        .value_kind:     by_value
      - .actual_access:  read_only
        .address_space:  global
        .offset:         16
        .size:           8
        .value_kind:     global_buffer
      - .actual_access:  read_only
        .address_space:  global
        .offset:         24
        .size:           8
        .value_kind:     global_buffer
      - .actual_access:  read_only
        .address_space:  global
        .offset:         32
        .size:           8
        .value_kind:     global_buffer
      - .offset:         40
        .size:           8
        .value_kind:     by_value
      - .actual_access:  read_only
        .address_space:  global
        .offset:         48
        .size:           8
        .value_kind:     global_buffer
      - .actual_access:  read_only
        .address_space:  global
        .offset:         56
        .size:           8
        .value_kind:     global_buffer
      - .offset:         64
        .size:           4
        .value_kind:     by_value
      - .actual_access:  read_only
        .address_space:  global
        .offset:         72
        .size:           8
        .value_kind:     global_buffer
      - .actual_access:  read_only
        .address_space:  global
        .offset:         80
        .size:           8
        .value_kind:     global_buffer
      - .actual_access:  read_only
        .address_space:  global
        .offset:         88
        .size:           8
        .value_kind:     global_buffer
      - .actual_access:  write_only
        .address_space:  global
        .offset:         96
        .size:           8
        .value_kind:     global_buffer
    .group_segment_fixed_size: 0
    .kernarg_segment_align: 8
    .kernarg_segment_size: 104
    .language:       OpenCL C
    .language_version:
      - 2
      - 0
    .max_flat_workgroup_size: 60
    .name:           fft_rtc_back_len2160_factors_10_6_6_6_wgs_60_tpt_60_halfLds_sp_op_CI_CI_unitstride_sbrr_dirReg
    .private_segment_fixed_size: 0
    .sgpr_count:     32
    .sgpr_spill_count: 0
    .symbol:         fft_rtc_back_len2160_factors_10_6_6_6_wgs_60_tpt_60_halfLds_sp_op_CI_CI_unitstride_sbrr_dirReg.kd
    .uniform_work_group_size: 1
    .uses_dynamic_stack: false
    .vgpr_count:     134
    .vgpr_spill_count: 0
    .wavefront_size: 64
amdhsa.target:   amdgcn-amd-amdhsa--gfx906
amdhsa.version:
  - 1
  - 2
...

	.end_amdgpu_metadata
